;; amdgpu-corpus repo=ROCm/rocFFT kind=compiled arch=gfx906 opt=O3
	.text
	.amdgcn_target "amdgcn-amd-amdhsa--gfx906"
	.amdhsa_code_object_version 6
	.protected	bluestein_single_back_len1530_dim1_dp_op_CI_CI ; -- Begin function bluestein_single_back_len1530_dim1_dp_op_CI_CI
	.globl	bluestein_single_back_len1530_dim1_dp_op_CI_CI
	.p2align	8
	.type	bluestein_single_back_len1530_dim1_dp_op_CI_CI,@function
bluestein_single_back_len1530_dim1_dp_op_CI_CI: ; @bluestein_single_back_len1530_dim1_dp_op_CI_CI
; %bb.0:
	s_mov_b64 s[66:67], s[2:3]
	s_mov_b64 s[64:65], s[0:1]
	v_mul_u32_u24_e32 v1, 0x283, v0
	s_add_u32 s64, s64, s7
	v_add_u32_sdwa v3, s6, v1 dst_sel:DWORD dst_unused:UNUSED_PAD src0_sel:DWORD src1_sel:WORD_1
	s_addc_u32 s65, s65, 0
	v_mov_b32_e32 v2, v3
	buffer_store_dword v2, off, s[64:67], 0 offset:4 ; 4-byte Folded Spill
	s_nop 0
	buffer_store_dword v3, off, s[64:67], 0 offset:8 ; 4-byte Folded Spill
	s_load_dwordx4 s[0:3], s[4:5], 0x28
	v_mov_b32_e32 v4, 0
	s_waitcnt lgkmcnt(0)
	v_cmp_gt_u64_e32 vcc, s[0:1], v[3:4]
	s_and_saveexec_b64 s[0:1], vcc
	s_cbranch_execz .LBB0_23
; %bb.1:
	s_load_dwordx2 s[12:13], s[4:5], 0x0
	s_load_dwordx2 s[14:15], s[4:5], 0x38
	s_movk_i32 s0, 0x66
	v_mul_lo_u16_sdwa v1, v1, s0 dst_sel:DWORD dst_unused:UNUSED_PAD src0_sel:WORD_1 src1_sel:DWORD
	v_sub_u16_e32 v0, v0, v1
	s_movk_i32 s0, 0x5a
	v_cmp_gt_u16_e64 s[0:1], s0, v0
	v_lshlrev_b32_e32 v68, 4, v0
	buffer_store_dword v0, off, s[64:67], 0 ; 4-byte Folded Spill
	s_and_saveexec_b64 s[6:7], s[0:1]
	s_cbranch_execz .LBB0_3
; %bb.2:
	s_load_dwordx2 s[8:9], s[4:5], 0x18
	s_waitcnt lgkmcnt(0)
	v_mov_b32_e32 v16, s13
	s_load_dwordx4 s[8:11], s[8:9], 0x0
	buffer_load_dword v0, off, s[64:67], 0 offset:4 ; 4-byte Folded Reload
	buffer_load_dword v1, off, s[64:67], 0 offset:8 ; 4-byte Folded Reload
	buffer_load_dword v6, off, s[64:67], 0  ; 4-byte Folded Reload
	s_waitcnt vmcnt(2)
	v_mov_b32_e32 v4, v0
	s_waitcnt vmcnt(1) lgkmcnt(0)
	v_mad_u64_u32 v[0:1], s[16:17], s10, v4, 0
	s_waitcnt vmcnt(0)
	v_mad_u64_u32 v[2:3], s[16:17], s8, v6, 0
	v_mad_u64_u32 v[4:5], s[10:11], s11, v4, v[1:2]
	;; [unrolled: 1-line block ×3, first 2 shown]
	v_mov_b32_e32 v1, v4
	v_lshlrev_b64 v[0:1], 4, v[0:1]
	v_mov_b32_e32 v3, v5
	v_mov_b32_e32 v6, s3
	v_lshlrev_b64 v[2:3], 4, v[2:3]
	v_add_co_u32_e32 v0, vcc, s2, v0
	v_addc_co_u32_e32 v1, vcc, v6, v1, vcc
	v_add_co_u32_e32 v40, vcc, v0, v2
	v_addc_co_u32_e32 v41, vcc, v1, v3, vcc
	global_load_dwordx4 v[0:3], v68, s[12:13]
	global_load_dwordx4 v[4:7], v[40:41], off
	v_add_co_u32_e32 v127, vcc, s12, v68
	s_movk_i32 s2, 0x1000
	s_movk_i32 s3, 0x2000
	v_addc_co_u32_e32 v128, vcc, 0, v16, vcc
	v_add_co_u32_e32 v42, vcc, s2, v127
	v_add_co_u32_e64 v44, s[2:3], s3, v127
	v_addc_co_u32_e32 v43, vcc, 0, v128, vcc
	v_addc_co_u32_e64 v45, vcc, 0, v128, s[2:3]
	s_mul_i32 s3, s9, 0x5a0
	s_mul_hi_u32 s9, s8, 0x5a0
	s_mul_i32 s2, s8, 0x5a0
	s_add_i32 s3, s9, s3
	global_load_dwordx4 v[8:11], v68, s[12:13] offset:1440
	global_load_dwordx4 v[12:15], v68, s[12:13] offset:2880
	global_load_dwordx4 v[16:19], v[42:43], off offset:224
	global_load_dwordx4 v[20:23], v[42:43], off offset:1664
	;; [unrolled: 1-line block ×6, first 2 shown]
	v_mov_b32_e32 v42, s3
	v_add_co_u32_e32 v43, vcc, s2, v40
	v_addc_co_u32_e32 v44, vcc, v41, v42, vcc
	v_mov_b32_e32 v46, s3
	v_add_co_u32_e32 v45, vcc, s2, v43
	v_addc_co_u32_e32 v46, vcc, v44, v46, vcc
	;; [unrolled: 3-line block ×5, first 2 shown]
	v_mov_b32_e32 v61, s3
	v_add_co_u32_e32 v63, vcc, s2, v59
	global_load_dwordx4 v[40:43], v[43:44], off
	v_addc_co_u32_e32 v64, vcc, v60, v61, vcc
	global_load_dwordx4 v[48:51], v[51:52], off
	v_mov_b32_e32 v65, s3
	global_load_dwordx4 v[44:47], v[45:46], off
	v_add_co_u32_e32 v69, vcc, s2, v63
	global_load_dwordx4 v[52:55], v[55:56], off
	v_addc_co_u32_e32 v70, vcc, v64, v65, vcc
	v_mov_b32_e32 v71, s3
	v_add_co_u32_e32 v72, vcc, s2, v69
	v_addc_co_u32_e32 v73, vcc, v70, v71, vcc
	v_mov_b32_e32 v74, s3
	v_add_co_u32_e32 v77, vcc, s2, v72
	v_addc_co_u32_e32 v78, vcc, v73, v74, vcc
	s_movk_i32 s8, 0x3000
	v_add_co_u32_e32 v97, vcc, s8, v127
	global_load_dwordx4 v[56:59], v[59:60], off
	v_addc_co_u32_e32 v98, vcc, 0, v128, vcc
	global_load_dwordx4 v[60:63], v[63:64], off
	v_mov_b32_e32 v79, s3
	v_add_co_u32_e32 v89, vcc, s2, v77
	global_load_dwordx4 v[64:67], v[69:70], off
	v_addc_co_u32_e32 v90, vcc, v78, v79, vcc
	global_load_dwordx4 v[69:72], v[72:73], off
	v_mov_b32_e32 v91, s3
	v_add_co_u32_e32 v99, vcc, s2, v89
	v_addc_co_u32_e32 v100, vcc, v90, v91, vcc
	global_load_dwordx4 v[73:76], v[77:78], off
	s_nop 0
	global_load_dwordx4 v[77:80], v[89:90], off
	global_load_dwordx4 v[81:84], v[97:98], off offset:672
	global_load_dwordx4 v[85:88], v[97:98], off offset:2112
	s_nop 0
	global_load_dwordx4 v[89:92], v[99:100], off
	global_load_dwordx4 v[93:96], v[97:98], off offset:3552
	v_mov_b32_e32 v97, s3
	v_add_co_u32_e32 v101, vcc, s2, v99
	v_addc_co_u32_e32 v102, vcc, v100, v97, vcc
	s_movk_i32 s8, 0x4000
	v_add_co_u32_e32 v117, vcc, s8, v127
	v_addc_co_u32_e32 v118, vcc, 0, v128, vcc
	v_mov_b32_e32 v103, s3
	v_add_co_u32_e32 v113, vcc, s2, v101
	v_addc_co_u32_e32 v114, vcc, v102, v103, vcc
	v_mov_b32_e32 v115, s3
	v_add_co_u32_e32 v121, vcc, s2, v113
	v_addc_co_u32_e32 v122, vcc, v114, v115, vcc
	v_mov_b32_e32 v123, s3
	v_add_co_u32_e32 v125, vcc, s2, v121
	v_addc_co_u32_e32 v126, vcc, v122, v123, vcc
	s_movk_i32 s8, 0x5000
	global_load_dwordx4 v[97:100], v[101:102], off
	v_add_co_u32_e32 v133, vcc, s8, v127
	global_load_dwordx4 v[101:104], v[113:114], off
	global_load_dwordx4 v[105:108], v[117:118], off offset:896
	global_load_dwordx4 v[109:112], v[117:118], off offset:2336
	v_addc_co_u32_e32 v134, vcc, 0, v128, vcc
	global_load_dwordx4 v[113:116], v[121:122], off
	s_nop 0
	global_load_dwordx4 v[117:120], v[117:118], off offset:3776
	v_mov_b32_e32 v127, s3
	v_add_co_u32_e32 v129, vcc, s2, v125
	global_load_dwordx4 v[121:124], v[125:126], off
	v_addc_co_u32_e32 v130, vcc, v126, v127, vcc
	global_load_dwordx4 v[125:128], v[133:134], off offset:1120
	s_nop 0
	global_load_dwordx4 v[129:132], v[129:130], off
	s_nop 0
	global_load_dwordx4 v[133:136], v[133:134], off offset:2560
	s_waitcnt vmcnt(32)
	v_mul_f64 v[137:138], v[6:7], v[2:3]
	v_mul_f64 v[139:140], v[4:5], v[2:3]
	v_fma_f64 v[2:3], v[4:5], v[0:1], v[137:138]
	v_fma_f64 v[4:5], v[6:7], v[0:1], -v[139:140]
	s_waitcnt vmcnt(23)
	v_mul_f64 v[0:1], v[42:43], v[10:11]
	s_waitcnt vmcnt(21)
	v_mul_f64 v[6:7], v[44:45], v[14:15]
	ds_write_b128 v68, v[2:5]
	v_mul_f64 v[2:3], v[40:41], v[10:11]
	v_mul_f64 v[4:5], v[46:47], v[14:15]
	;; [unrolled: 1-line block ×4, first 2 shown]
	s_waitcnt vmcnt(20)
	v_mul_f64 v[18:19], v[54:55], v[22:23]
	v_mul_f64 v[22:23], v[52:53], v[22:23]
	v_fma_f64 v[0:1], v[40:41], v[8:9], v[0:1]
	v_fma_f64 v[6:7], v[46:47], v[12:13], -v[6:7]
	v_fma_f64 v[2:3], v[42:43], v[8:9], -v[2:3]
	v_fma_f64 v[4:5], v[44:45], v[12:13], v[4:5]
	v_fma_f64 v[8:9], v[48:49], v[16:17], v[10:11]
	v_fma_f64 v[10:11], v[50:51], v[16:17], -v[14:15]
	v_fma_f64 v[12:13], v[52:53], v[20:21], v[18:19]
	s_waitcnt vmcnt(19)
	v_mul_f64 v[16:17], v[58:59], v[26:27]
	v_mul_f64 v[18:19], v[56:57], v[26:27]
	v_fma_f64 v[14:15], v[54:55], v[20:21], -v[22:23]
	s_waitcnt vmcnt(18)
	v_mul_f64 v[20:21], v[62:63], v[30:31]
	v_mul_f64 v[22:23], v[60:61], v[30:31]
	s_waitcnt vmcnt(17)
	v_mul_f64 v[26:27], v[66:67], v[34:35]
	v_mul_f64 v[30:31], v[64:65], v[34:35]
	;; [unrolled: 3-line block ×3, first 2 shown]
	v_fma_f64 v[16:17], v[56:57], v[24:25], v[16:17]
	v_fma_f64 v[18:19], v[58:59], v[24:25], -v[18:19]
	v_fma_f64 v[20:21], v[60:61], v[28:29], v[20:21]
	v_fma_f64 v[22:23], v[62:63], v[28:29], -v[22:23]
	;; [unrolled: 2-line block ×4, first 2 shown]
	ds_write_b128 v68, v[0:3] offset:1440
	ds_write_b128 v68, v[4:7] offset:2880
	;; [unrolled: 1-line block ×8, first 2 shown]
	s_waitcnt vmcnt(13)
	v_mul_f64 v[0:1], v[75:76], v[83:84]
	v_mul_f64 v[2:3], v[73:74], v[83:84]
	s_waitcnt vmcnt(12)
	v_mul_f64 v[4:5], v[79:80], v[87:88]
	v_mul_f64 v[6:7], v[77:78], v[87:88]
	;; [unrolled: 3-line block ×3, first 2 shown]
	v_fma_f64 v[0:1], v[73:74], v[81:82], v[0:1]
	v_fma_f64 v[2:3], v[75:76], v[81:82], -v[2:3]
	v_fma_f64 v[4:5], v[77:78], v[85:86], v[4:5]
	v_fma_f64 v[6:7], v[79:80], v[85:86], -v[6:7]
	;; [unrolled: 2-line block ×3, first 2 shown]
	s_waitcnt vmcnt(7)
	v_mul_f64 v[12:13], v[99:100], v[107:108]
	v_mul_f64 v[14:15], v[97:98], v[107:108]
	s_waitcnt vmcnt(6)
	v_mul_f64 v[16:17], v[103:104], v[111:112]
	v_mul_f64 v[18:19], v[101:102], v[111:112]
	;; [unrolled: 3-line block ×3, first 2 shown]
	v_fma_f64 v[12:13], v[97:98], v[105:106], v[12:13]
	s_waitcnt vmcnt(2)
	v_mul_f64 v[24:25], v[123:124], v[127:128]
	v_mul_f64 v[26:27], v[121:122], v[127:128]
	s_waitcnt vmcnt(0)
	v_mul_f64 v[28:29], v[131:132], v[135:136]
	v_mul_f64 v[30:31], v[129:130], v[135:136]
	v_fma_f64 v[14:15], v[99:100], v[105:106], -v[14:15]
	v_fma_f64 v[16:17], v[101:102], v[109:110], v[16:17]
	v_fma_f64 v[18:19], v[103:104], v[109:110], -v[18:19]
	v_fma_f64 v[20:21], v[113:114], v[117:118], v[20:21]
	;; [unrolled: 2-line block ×4, first 2 shown]
	v_fma_f64 v[30:31], v[131:132], v[133:134], -v[30:31]
	ds_write_b128 v68, v[0:3] offset:12960
	ds_write_b128 v68, v[4:7] offset:14400
	;; [unrolled: 1-line block ×8, first 2 shown]
.LBB0_3:
	s_or_b64 exec, exec, s[6:7]
	s_load_dwordx2 s[2:3], s[4:5], 0x20
	s_load_dwordx2 s[8:9], s[4:5], 0x8
	s_waitcnt vmcnt(0) lgkmcnt(0)
	s_barrier
	s_waitcnt lgkmcnt(0)
                                        ; implicit-def: $vgpr0_vgpr1
                                        ; implicit-def: $vgpr60_vgpr61
                                        ; implicit-def: $vgpr64_vgpr65
                                        ; implicit-def: $vgpr56_vgpr57
                                        ; implicit-def: $vgpr52_vgpr53
                                        ; implicit-def: $vgpr48_vgpr49
                                        ; implicit-def: $vgpr4_vgpr5
                                        ; implicit-def: $vgpr8_vgpr9
                                        ; implicit-def: $vgpr12_vgpr13
                                        ; implicit-def: $vgpr16_vgpr17
                                        ; implicit-def: $vgpr20_vgpr21
                                        ; implicit-def: $vgpr24_vgpr25
                                        ; implicit-def: $vgpr28_vgpr29
                                        ; implicit-def: $vgpr32_vgpr33
                                        ; implicit-def: $vgpr36_vgpr37
                                        ; implicit-def: $vgpr40_vgpr41
                                        ; implicit-def: $vgpr44_vgpr45
	s_and_saveexec_b64 s[4:5], s[0:1]
	s_cbranch_execz .LBB0_5
; %bb.4:
	ds_read_b128 v[0:3], v68
	ds_read_b128 v[60:63], v68 offset:1440
	ds_read_b128 v[64:67], v68 offset:2880
	ds_read_b128 v[56:59], v68 offset:4320
	ds_read_b128 v[52:55], v68 offset:5760
	ds_read_b128 v[48:51], v68 offset:7200
	ds_read_b128 v[4:7], v68 offset:8640
	ds_read_b128 v[8:11], v68 offset:10080
	ds_read_b128 v[12:15], v68 offset:11520
	ds_read_b128 v[16:19], v68 offset:12960
	ds_read_b128 v[20:23], v68 offset:14400
	ds_read_b128 v[24:27], v68 offset:15840
	ds_read_b128 v[28:31], v68 offset:17280
	ds_read_b128 v[32:35], v68 offset:18720
	ds_read_b128 v[36:39], v68 offset:20160
	ds_read_b128 v[40:43], v68 offset:21600
	ds_read_b128 v[44:47], v68 offset:23040
.LBB0_5:
	s_or_b64 exec, exec, s[4:5]
	s_waitcnt lgkmcnt(0)
	v_add_f64 v[150:151], v[62:63], -v[46:47]
	v_add_f64 v[140:141], v[60:61], -v[44:45]
	s_mov_b32 s18, 0x5d8e7cdc
	s_mov_b32 s19, 0xbfd71e95
	v_add_f64 v[116:117], v[60:61], v[44:45]
	v_add_f64 v[124:125], v[62:63], v[46:47]
	v_add_f64 v[174:175], v[66:67], -v[42:43]
	v_add_f64 v[152:153], v[64:65], -v[40:41]
	v_mul_f64 v[85:86], v[150:151], s[18:19]
	v_mul_f64 v[87:88], v[140:141], s[18:19]
	s_mov_b32 s4, 0x370991
	s_mov_b32 s24, 0x2a9d6da3
	;; [unrolled: 1-line block ×4, first 2 shown]
	v_mul_f64 v[89:90], v[150:151], s[24:25]
	v_mul_f64 v[130:131], v[140:141], s[24:25]
	v_fma_f64 v[69:70], v[116:117], s[4:5], v[85:86]
	v_fma_f64 v[71:72], v[124:125], s[4:5], -v[87:88]
	v_add_f64 v[126:127], v[64:65], v[40:41]
	v_add_f64 v[142:143], v[66:67], v[42:43]
	v_mul_f64 v[91:92], v[174:175], s[24:25]
	v_mul_f64 v[93:94], v[152:153], s[24:25]
	v_add_f64 v[190:191], v[58:59], -v[38:39]
	v_add_f64 v[176:177], v[56:57], -v[36:37]
	s_mov_b32 s6, 0x75d4884
	s_mov_b32 s16, 0xeb564b22
	;; [unrolled: 1-line block ×6, first 2 shown]
	v_fma_f64 v[73:74], v[116:117], s[6:7], v[89:90]
	v_fma_f64 v[75:76], v[124:125], s[6:7], -v[130:131]
	v_add_f64 v[69:70], v[0:1], v[69:70]
	v_add_f64 v[71:72], v[2:3], v[71:72]
	v_mul_f64 v[95:96], v[174:175], s[16:17]
	v_mul_f64 v[136:137], v[152:153], s[16:17]
	v_fma_f64 v[77:78], v[126:127], s[6:7], v[91:92]
	v_fma_f64 v[79:80], v[142:143], s[6:7], -v[93:94]
	v_add_f64 v[138:139], v[56:57], v[36:37]
	v_add_f64 v[148:149], v[58:59], v[38:39]
	v_mul_f64 v[97:98], v[190:191], s[34:35]
	v_mul_f64 v[108:109], v[176:177], s[34:35]
	v_add_f64 v[206:207], v[54:55], -v[34:35]
	v_add_f64 v[194:195], v[52:53], -v[32:33]
	s_mov_b32 s10, 0x3259b75e
	s_mov_b32 s20, 0x2b2883cd
	;; [unrolled: 1-line block ×6, first 2 shown]
	v_add_f64 v[73:74], v[0:1], v[73:74]
	v_add_f64 v[75:76], v[2:3], v[75:76]
	v_fma_f64 v[81:82], v[126:127], s[10:11], v[95:96]
	v_fma_f64 v[83:84], v[142:143], s[10:11], -v[136:137]
	v_add_f64 v[69:70], v[77:78], v[69:70]
	v_add_f64 v[71:72], v[79:80], v[71:72]
	v_mul_f64 v[122:123], v[190:191], s[40:41]
	v_mul_f64 v[154:155], v[176:177], s[40:41]
	v_fma_f64 v[77:78], v[138:139], s[20:21], v[97:98]
	v_fma_f64 v[79:80], v[148:149], s[20:21], -v[108:109]
	v_add_f64 v[170:171], v[52:53], v[32:33]
	v_add_f64 v[172:173], v[54:55], v[34:35]
	v_mul_f64 v[128:129], v[206:207], s[16:17]
	v_mul_f64 v[132:133], v[194:195], s[16:17]
	v_add_f64 v[220:221], v[50:51], -v[30:31]
	v_add_f64 v[204:205], v[48:49], -v[28:29]
	s_mov_b32 s26, 0x6ed5f1bb
	s_mov_b32 s44, 0xacd6c6b4
	;; [unrolled: 1-line block ×6, first 2 shown]
	v_add_f64 v[73:74], v[81:82], v[73:74]
	v_add_f64 v[75:76], v[83:84], v[75:76]
	v_fma_f64 v[81:82], v[138:139], s[26:27], v[122:123]
	v_fma_f64 v[83:84], v[148:149], s[26:27], -v[154:155]
	v_add_f64 v[69:70], v[77:78], v[69:70]
	v_add_f64 v[71:72], v[79:80], v[71:72]
	v_mul_f64 v[134:135], v[206:207], s[44:45]
	v_mul_f64 v[166:167], v[194:195], s[44:45]
	v_fma_f64 v[77:78], v[170:171], s[10:11], v[128:129]
	v_fma_f64 v[79:80], v[172:173], s[10:11], -v[132:133]
	v_add_f64 v[162:163], v[48:49], v[28:29]
	v_add_f64 v[188:189], v[50:51], v[30:31]
	v_mul_f64 v[144:145], v[220:221], s[46:47]
	v_mul_f64 v[146:147], v[204:205], s[46:47]
	s_mov_b32 s28, 0x7faef3
	s_mov_b32 s38, 0xc61f0d01
	s_mov_b32 s36, 0x4363dd80
	s_mov_b32 s29, 0xbfef7484
	s_mov_b32 s39, 0xbfd183b1
	s_mov_b32 s37, 0x3fe0d888
	v_add_f64 v[73:74], v[81:82], v[73:74]
	v_add_f64 v[75:76], v[83:84], v[75:76]
	v_fma_f64 v[81:82], v[170:171], s[28:29], v[134:135]
	v_fma_f64 v[83:84], v[172:173], s[28:29], -v[166:167]
	v_add_f64 v[69:70], v[77:78], v[69:70]
	v_add_f64 v[71:72], v[79:80], v[71:72]
	v_fma_f64 v[77:78], v[162:163], s[38:39], v[144:145]
	v_fma_f64 v[79:80], v[188:189], s[38:39], -v[146:147]
	v_add_f64 v[228:229], v[6:7], -v[26:27]
	v_add_f64 v[222:223], v[4:5], -v[24:25]
	v_mul_f64 v[160:161], v[220:221], s[36:37]
	v_mul_f64 v[196:197], v[204:205], s[36:37]
	s_mov_b32 s30, 0x910ea3b9
	s_mov_b32 s31, 0xbfeb34fa
	;; [unrolled: 1-line block ×4, first 2 shown]
	v_add_f64 v[73:74], v[81:82], v[73:74]
	v_add_f64 v[75:76], v[83:84], v[75:76]
	;; [unrolled: 1-line block ×4, first 2 shown]
	v_mul_f64 v[156:157], v[228:229], s[40:41]
	v_mul_f64 v[158:159], v[222:223], s[40:41]
	v_add_f64 v[69:70], v[77:78], v[69:70]
	v_add_f64 v[71:72], v[79:80], v[71:72]
	v_fma_f64 v[77:78], v[162:163], s[30:31], v[160:161]
	v_fma_f64 v[79:80], v[188:189], s[30:31], -v[196:197]
	v_mul_f64 v[164:165], v[228:229], s[48:49]
	v_mul_f64 v[198:199], v[222:223], s[48:49]
	v_add_f64 v[230:231], v[10:11], -v[22:23]
	v_add_f64 v[208:209], v[8:9], -v[20:21]
	s_mov_b32 s43, 0xbfe0d888
	s_mov_b32 s42, s36
	;; [unrolled: 1-line block ×4, first 2 shown]
	v_fma_f64 v[81:82], v[184:185], s[26:27], v[156:157]
	v_fma_f64 v[83:84], v[202:203], s[26:27], -v[158:159]
	v_add_f64 v[73:74], v[77:78], v[73:74]
	v_add_f64 v[75:76], v[79:80], v[75:76]
	v_fma_f64 v[77:78], v[184:185], s[38:39], v[164:165]
	v_fma_f64 v[79:80], v[202:203], s[38:39], -v[198:199]
	v_add_f64 v[200:201], v[8:9], v[20:21]
	v_add_f64 v[214:215], v[10:11], v[22:23]
	v_mul_f64 v[168:169], v[230:231], s[42:43]
	v_mul_f64 v[178:179], v[208:209], s[42:43]
	;; [unrolled: 1-line block ×4, first 2 shown]
	v_add_f64 v[226:227], v[14:15], -v[18:19]
	v_add_f64 v[216:217], v[12:13], -v[16:17]
	s_mov_b32 s51, 0x3fd71e95
	s_mov_b32 s50, s18
	v_add_f64 v[69:70], v[81:82], v[69:70]
	v_add_f64 v[71:72], v[83:84], v[71:72]
	;; [unrolled: 1-line block ×4, first 2 shown]
	v_fma_f64 v[77:78], v[200:201], s[30:31], v[168:169]
	v_fma_f64 v[79:80], v[214:215], s[30:31], -v[178:179]
	v_fma_f64 v[81:82], v[200:201], s[20:21], v[180:181]
	v_fma_f64 v[83:84], v[214:215], s[20:21], -v[210:211]
	v_add_f64 v[212:213], v[12:13], v[16:17]
	v_add_f64 v[224:225], v[14:15], v[18:19]
	v_mul_f64 v[182:183], v[226:227], s[44:45]
	v_mul_f64 v[186:187], v[216:217], s[44:45]
	;; [unrolled: 1-line block ×4, first 2 shown]
	v_add_f64 v[69:70], v[77:78], v[69:70]
	v_add_f64 v[71:72], v[79:80], v[71:72]
	;; [unrolled: 1-line block ×4, first 2 shown]
	v_fma_f64 v[77:78], v[212:213], s[28:29], v[182:183]
	v_fma_f64 v[79:80], v[224:225], s[28:29], -v[186:187]
	v_fma_f64 v[81:82], v[212:213], s[4:5], v[192:193]
	v_fma_f64 v[83:84], v[224:225], s[4:5], -v[218:219]
	s_barrier
	v_add_f64 v[104:105], v[77:78], v[69:70]
	v_add_f64 v[106:107], v[79:80], v[71:72]
	;; [unrolled: 1-line block ×4, first 2 shown]
	s_and_saveexec_b64 s[22:23], s[0:1]
	s_cbranch_execz .LBB0_7
; %bb.6:
	v_mul_f64 v[69:70], v[124:125], s[28:29]
	s_mov_b32 s55, 0x3fc7851a
	s_mov_b32 s54, s44
	v_mul_f64 v[77:78], v[142:143], s[4:5]
	v_mul_f64 v[79:80], v[150:151], s[44:45]
	buffer_store_dword v85, off, s[64:67], 0 offset:28 ; 4-byte Folded Spill
	s_nop 0
	buffer_store_dword v86, off, s[64:67], 0 offset:32 ; 4-byte Folded Spill
	buffer_store_dword v87, off, s[64:67], 0 offset:76 ; 4-byte Folded Spill
	s_nop 0
	buffer_store_dword v88, off, s[64:67], 0 offset:80 ; 4-byte Folded Spill
	;; [unrolled: 3-line block ×3, first 2 shown]
	v_fma_f64 v[81:82], v[140:141], s[54:55], v[69:70]
	buffer_store_dword v91, off, s[64:67], 0 offset:12 ; 4-byte Folded Spill
	s_nop 0
	buffer_store_dword v92, off, s[64:67], 0 offset:16 ; 4-byte Folded Spill
	v_mul_f64 v[85:86], v[148:149], s[30:31]
	v_mul_f64 v[87:88], v[174:175], s[50:51]
	v_fma_f64 v[89:90], v[152:153], s[18:19], v[77:78]
	v_fma_f64 v[91:92], v[116:117], s[28:29], v[79:80]
	buffer_store_dword v93, off, s[64:67], 0 offset:60 ; 4-byte Folded Spill
	s_nop 0
	buffer_store_dword v94, off, s[64:67], 0 offset:64 ; 4-byte Folded Spill
	v_mul_f64 v[93:94], v[172:173], s[6:7]
	v_add_f64 v[81:82], v[2:3], v[81:82]
	v_mul_f64 v[232:233], v[190:191], s[42:43]
	v_fma_f64 v[69:70], v[140:141], s[44:45], v[69:70]
	v_fma_f64 v[234:235], v[176:177], s[36:37], v[85:86]
	;; [unrolled: 1-line block ×3, first 2 shown]
	v_add_f64 v[91:92], v[0:1], v[91:92]
	s_mov_b32 s57, 0x3fe58eea
	s_mov_b32 s56, s24
	v_add_f64 v[81:82], v[89:90], v[81:82]
	v_mul_f64 v[83:84], v[188:189], s[26:27]
	v_mul_f64 v[89:90], v[206:207], s[56:57]
	v_fma_f64 v[77:78], v[152:153], s[50:51], v[77:78]
	v_add_f64 v[69:70], v[2:3], v[69:70]
	v_fma_f64 v[238:239], v[194:195], s[24:25], v[93:94]
	v_fma_f64 v[240:241], v[138:139], s[30:31], v[232:233]
	v_add_f64 v[91:92], v[236:237], v[91:92]
	v_add_f64 v[81:82], v[234:235], v[81:82]
	s_mov_b32 s61, 0x3fe9895b
	s_mov_b32 s60, s40
	v_mul_f64 v[75:76], v[202:203], s[20:21]
	v_mul_f64 v[236:237], v[220:221], s[40:41]
	v_fma_f64 v[85:86], v[176:177], s[42:43], v[85:86]
	v_add_f64 v[69:70], v[77:78], v[69:70]
	v_fma_f64 v[77:78], v[204:205], s[60:61], v[83:84]
	v_fma_f64 v[234:235], v[170:171], s[6:7], v[89:90]
	v_add_f64 v[91:92], v[240:241], v[91:92]
	v_add_f64 v[81:82], v[238:239], v[81:82]
	v_mul_f64 v[240:241], v[228:229], s[52:53]
	v_fma_f64 v[93:94], v[194:195], s[56:57], v[93:94]
	v_fma_f64 v[242:243], v[162:163], s[26:27], v[236:237]
	v_add_f64 v[69:70], v[85:86], v[69:70]
	v_fma_f64 v[85:86], v[222:223], s[34:35], v[75:76]
	v_fma_f64 v[79:80], v[116:117], s[28:29], -v[79:80]
	v_add_f64 v[91:92], v[234:235], v[91:92]
	v_add_f64 v[77:78], v[77:78], v[81:82]
	v_mul_f64 v[73:74], v[214:215], s[38:39]
	v_mul_f64 v[238:239], v[230:231], s[46:47]
	v_fma_f64 v[83:84], v[204:205], s[40:41], v[83:84]
	v_add_f64 v[69:70], v[93:94], v[69:70]
	v_fma_f64 v[234:235], v[184:185], s[20:21], v[240:241]
	v_add_f64 v[79:80], v[0:1], v[79:80]
	v_add_f64 v[91:92], v[242:243], v[91:92]
	;; [unrolled: 1-line block ×3, first 2 shown]
	v_fma_f64 v[85:86], v[126:127], s[4:5], -v[87:88]
	s_mov_b32 s59, 0x3fefdd0d
	s_mov_b32 s58, s16
	v_mul_f64 v[71:72], v[224:225], s[10:11]
	v_fma_f64 v[93:94], v[208:209], s[48:49], v[73:74]
	v_fma_f64 v[75:76], v[222:223], s[52:53], v[75:76]
	v_add_f64 v[69:70], v[83:84], v[69:70]
	v_mul_f64 v[83:84], v[226:227], s[58:59]
	v_fma_f64 v[87:88], v[200:201], s[38:39], v[238:239]
	v_add_f64 v[91:92], v[234:235], v[91:92]
	v_fma_f64 v[232:233], v[138:139], s[30:31], -v[232:233]
	v_add_f64 v[79:80], v[85:86], v[79:80]
	v_fma_f64 v[81:82], v[216:217], s[16:17], v[71:72]
	v_fma_f64 v[73:74], v[208:209], s[46:47], v[73:74]
	v_add_f64 v[69:70], v[75:76], v[69:70]
	v_add_f64 v[75:76], v[93:94], v[77:78]
	v_fma_f64 v[77:78], v[212:213], s[10:11], v[83:84]
	v_mul_f64 v[85:86], v[124:125], s[30:31]
	v_add_f64 v[87:88], v[87:88], v[91:92]
	v_fma_f64 v[89:90], v[170:171], s[6:7], -v[89:90]
	v_add_f64 v[79:80], v[232:233], v[79:80]
	v_fma_f64 v[71:72], v[216:217], s[58:59], v[71:72]
	v_add_f64 v[69:70], v[73:74], v[69:70]
	v_add_f64 v[234:235], v[81:82], v[75:76]
	v_mul_f64 v[81:82], v[142:143], s[20:21]
	v_fma_f64 v[91:92], v[140:141], s[36:37], v[85:86]
	v_add_f64 v[232:233], v[77:78], v[87:88]
	v_fma_f64 v[76:77], v[162:163], s[26:27], -v[236:237]
	v_mul_f64 v[87:88], v[150:151], s[42:43]
	v_add_f64 v[78:79], v[89:90], v[79:80]
	v_add_f64 v[74:75], v[71:72], v[69:70]
	v_mul_f64 v[69:70], v[148:149], s[10:11]
	v_fma_f64 v[71:72], v[152:153], s[34:35], v[81:82]
	v_add_f64 v[89:90], v[2:3], v[91:92]
	v_fma_f64 v[91:92], v[184:185], s[20:21], -v[240:241]
	v_mul_f64 v[93:94], v[174:175], s[52:53]
	v_fma_f64 v[236:237], v[116:117], s[30:31], v[87:88]
	v_add_f64 v[76:77], v[76:77], v[78:79]
	v_fma_f64 v[78:79], v[200:201], s[38:39], -v[238:239]
	v_fma_f64 v[240:241], v[176:177], s[58:59], v[69:70]
	v_fma_f64 v[85:86], v[140:141], s[42:43], v[85:86]
	v_add_f64 v[71:72], v[71:72], v[89:90]
	v_mul_f64 v[89:90], v[190:191], s[16:17]
	v_fma_f64 v[242:243], v[126:127], s[20:21], v[93:94]
	v_add_f64 v[236:237], v[0:1], v[236:237]
	v_add_f64 v[76:77], v[91:92], v[76:77]
	v_fma_f64 v[87:88], v[116:117], s[30:31], -v[87:88]
	v_mul_f64 v[238:239], v[172:173], s[26:27]
	v_fma_f64 v[93:94], v[126:127], s[20:21], -v[93:94]
	v_add_f64 v[71:72], v[240:241], v[71:72]
	v_mul_f64 v[240:241], v[206:207], s[60:61]
	v_mul_f64 v[91:92], v[188:189], s[4:5]
	v_add_f64 v[236:237], v[242:243], v[236:237]
	v_fma_f64 v[242:243], v[138:139], s[10:11], v[89:90]
	v_add_f64 v[76:77], v[78:79], v[76:77]
	v_fma_f64 v[78:79], v[152:153], s[52:53], v[81:82]
	v_add_f64 v[80:81], v[2:3], v[85:86]
	v_add_f64 v[87:88], v[0:1], v[87:88]
	v_fma_f64 v[244:245], v[194:195], s[40:41], v[238:239]
	v_fma_f64 v[69:70], v[176:177], s[16:17], v[69:70]
	v_fma_f64 v[89:90], v[138:139], s[10:11], -v[89:90]
	v_add_f64 v[236:237], v[242:243], v[236:237]
	v_fma_f64 v[242:243], v[170:171], s[26:27], v[240:241]
	v_mul_f64 v[85:86], v[202:203], s[28:29]
	v_add_f64 v[78:79], v[78:79], v[80:81]
	v_mul_f64 v[80:81], v[220:221], s[18:19]
	v_add_f64 v[87:88], v[93:94], v[87:88]
	v_add_f64 v[71:72], v[244:245], v[71:72]
	v_fma_f64 v[244:245], v[204:205], s[50:51], v[91:92]
	v_mul_f64 v[93:94], v[228:229], s[44:45]
	v_add_f64 v[236:237], v[242:243], v[236:237]
	v_fma_f64 v[238:239], v[194:195], s[60:61], v[238:239]
	v_add_f64 v[69:70], v[69:70], v[78:79]
	v_fma_f64 v[242:243], v[162:163], s[4:5], v[80:81]
	v_fma_f64 v[240:241], v[170:171], s[26:27], -v[240:241]
	v_add_f64 v[87:88], v[89:90], v[87:88]
	v_add_f64 v[71:72], v[244:245], v[71:72]
	v_fma_f64 v[244:245], v[222:223], s[54:55], v[85:86]
	v_mul_f64 v[78:79], v[214:215], s[6:7]
	v_fma_f64 v[89:90], v[184:185], s[28:29], v[93:94]
	v_add_f64 v[69:70], v[238:239], v[69:70]
	v_add_f64 v[236:237], v[242:243], v[236:237]
	v_mul_f64 v[242:243], v[230:231], s[56:57]
	v_fma_f64 v[91:92], v[204:205], s[18:19], v[91:92]
	v_add_f64 v[87:88], v[240:241], v[87:88]
	v_fma_f64 v[80:81], v[162:163], s[4:5], -v[80:81]
	v_fma_f64 v[83:84], v[212:213], s[10:11], -v[83:84]
	v_add_f64 v[71:72], v[244:245], v[71:72]
	v_fma_f64 v[244:245], v[208:209], s[24:25], v[78:79]
	v_mul_f64 v[238:239], v[224:225], s[38:39]
	v_add_f64 v[89:90], v[89:90], v[236:237]
	v_fma_f64 v[236:237], v[200:201], s[6:7], v[242:243]
	v_fma_f64 v[85:86], v[222:223], s[44:45], v[85:86]
	v_add_f64 v[69:70], v[91:92], v[69:70]
	v_mul_f64 v[91:92], v[124:125], s[26:27]
	v_add_f64 v[80:81], v[80:81], v[87:88]
	v_fma_f64 v[93:94], v[184:185], s[28:29], -v[93:94]
	v_mul_f64 v[240:241], v[226:227], s[46:47]
	v_add_f64 v[244:245], v[244:245], v[71:72]
	v_fma_f64 v[246:247], v[216:217], s[48:49], v[238:239]
	v_add_f64 v[89:90], v[236:237], v[89:90]
	v_add_f64 v[72:73], v[83:84], v[76:77]
	v_fma_f64 v[76:77], v[208:209], s[56:57], v[78:79]
	v_mul_f64 v[236:237], v[142:143], s[38:39]
	v_fma_f64 v[82:83], v[140:141], s[60:61], v[91:92]
	v_add_f64 v[69:70], v[85:86], v[69:70]
	v_fma_f64 v[84:85], v[200:201], s[6:7], -v[242:243]
	v_add_f64 v[80:81], v[93:94], v[80:81]
	v_mul_f64 v[93:94], v[150:151], s[40:41]
	v_fma_f64 v[87:88], v[212:213], s[38:39], v[240:241]
	v_add_f64 v[78:79], v[246:247], v[244:245]
	v_mul_f64 v[242:243], v[148:149], s[4:5]
	v_fma_f64 v[244:245], v[152:153], s[46:47], v[236:237]
	v_add_f64 v[82:83], v[2:3], v[82:83]
	v_add_f64 v[69:70], v[76:77], v[69:70]
	v_mul_f64 v[246:247], v[174:175], s[48:49]
	v_add_f64 v[80:81], v[84:85], v[80:81]
	v_fma_f64 v[84:85], v[116:117], s[26:27], v[93:94]
	v_fma_f64 v[238:239], v[216:217], s[46:47], v[238:239]
	v_fma_f64 v[240:241], v[212:213], s[38:39], -v[240:241]
	v_add_f64 v[76:77], v[87:88], v[89:90]
	v_mul_f64 v[88:89], v[172:173], s[30:31]
	v_fma_f64 v[86:87], v[176:177], s[50:51], v[242:243]
	v_add_f64 v[244:245], v[244:245], v[82:83]
	v_fma_f64 v[248:249], v[126:127], s[38:39], v[246:247]
	v_add_f64 v[84:85], v[0:1], v[84:85]
	v_add_f64 v[82:83], v[238:239], v[69:70]
	v_mul_f64 v[69:70], v[190:191], s[18:19]
	v_add_f64 v[80:81], v[240:241], v[80:81]
	v_mul_f64 v[238:239], v[188:189], s[10:11]
	v_fma_f64 v[240:241], v[194:195], s[36:37], v[88:89]
	v_add_f64 v[86:87], v[86:87], v[244:245]
	buffer_store_dword v95, off, s[64:67], 0 offset:108 ; 4-byte Folded Spill
	s_nop 0
	buffer_store_dword v96, off, s[64:67], 0 offset:112 ; 4-byte Folded Spill
	v_add_f64 v[84:85], v[248:249], v[84:85]
	buffer_store_dword v97, off, s[64:67], 0 offset:92 ; 4-byte Folded Spill
	s_nop 0
	buffer_store_dword v98, off, s[64:67], 0 offset:96 ; 4-byte Folded Spill
	v_fma_f64 v[244:245], v[138:139], s[4:5], v[69:70]
	buffer_store_dword v108, off, s[64:67], 0 offset:124 ; 4-byte Folded Spill
	s_nop 0
	buffer_store_dword v109, off, s[64:67], 0 offset:128 ; 4-byte Folded Spill
	v_fma_f64 v[90:91], v[140:141], s[40:41], v[91:92]
	v_fma_f64 v[88:89], v[194:195], s[42:43], v[88:89]
	v_add_f64 v[86:87], v[240:241], v[86:87]
	v_fma_f64 v[240:241], v[204:205], s[16:17], v[238:239]
	v_fma_f64 v[69:70], v[138:139], s[4:5], -v[69:70]
	v_mul_f64 v[110:111], v[230:231], s[18:19]
	v_add_f64 v[84:85], v[244:245], v[84:85]
	v_mul_f64 v[244:245], v[206:207], s[42:43]
	v_add_f64 v[90:91], v[2:3], v[90:91]
	v_mul_f64 v[112:113], v[224:225], s[26:27]
	v_mul_f64 v[118:119], v[224:225], s[6:7]
	v_add_f64 v[86:87], v[240:241], v[86:87]
	v_mul_f64 v[120:121], v[226:227], s[56:57]
	v_fma_f64 v[240:241], v[170:171], s[30:31], v[244:245]
	v_add_f64 v[84:85], v[240:241], v[84:85]
	v_mul_f64 v[240:241], v[202:203], s[6:7]
	v_fma_f64 v[248:249], v[222:223], s[56:57], v[240:241]
	;; [unrolled: 3-line block ×8, first 2 shown]
	v_add_f64 v[84:85], v[108:109], v[84:85]
	v_fma_f64 v[108:109], v[152:153], s[48:49], v[236:237]
	v_mul_f64 v[236:237], v[124:125], s[38:39]
	v_add_f64 v[90:91], v[108:109], v[90:91]
	v_fma_f64 v[108:109], v[176:177], s[18:19], v[242:243]
	v_mul_f64 v[242:243], v[214:215], s[4:5]
	v_add_f64 v[90:91], v[108:109], v[90:91]
	v_fma_f64 v[108:109], v[162:163], s[10:11], -v[248:249]
	v_mul_f64 v[248:249], v[190:191], s[56:57]
	v_add_f64 v[88:89], v[88:89], v[90:91]
	v_fma_f64 v[90:91], v[204:205], s[58:59], v[238:239]
	v_mul_f64 v[238:239], v[142:143], s[30:31]
	v_add_f64 v[88:89], v[90:91], v[88:89]
	v_fma_f64 v[90:91], v[116:117], s[26:27], -v[93:94]
	v_fma_f64 v[92:93], v[126:127], s[38:39], -v[246:247]
	v_fma_f64 v[94:95], v[216:217], s[52:53], v[95:96]
	v_fma_f64 v[96:97], v[212:213], s[20:21], -v[97:98]
	v_mul_f64 v[98:99], v[172:173], s[20:21]
	v_mul_f64 v[246:247], v[174:175], s[36:37]
	v_add_f64 v[90:91], v[0:1], v[90:91]
	v_add_f64 v[90:91], v[92:93], v[90:91]
	v_fma_f64 v[92:93], v[222:223], s[24:25], v[240:241]
	v_fma_f64 v[240:241], v[200:201], s[28:29], -v[254:255]
	v_mul_f64 v[254:255], v[228:229], s[58:59]
	v_add_f64 v[69:70], v[69:70], v[90:91]
	v_fma_f64 v[90:91], v[170:171], s[30:31], -v[244:245]
	v_add_f64 v[88:89], v[92:93], v[88:89]
	v_fma_f64 v[92:93], v[140:141], s[48:49], v[236:237]
	v_mul_f64 v[244:245], v[150:151], s[46:47]
	v_add_f64 v[69:70], v[90:91], v[69:70]
	v_fma_f64 v[90:91], v[208:209], s[44:45], v[250:251]
	v_add_f64 v[92:93], v[2:3], v[92:93]
	v_mul_f64 v[250:251], v[206:207], s[34:35]
	v_add_f64 v[69:70], v[108:109], v[69:70]
	v_fma_f64 v[108:109], v[184:185], s[6:7], -v[252:253]
	v_add_f64 v[88:89], v[90:91], v[88:89]
	v_fma_f64 v[90:91], v[152:153], s[42:43], v[238:239]
	v_mul_f64 v[252:253], v[220:221], s[44:45]
	v_add_f64 v[69:70], v[108:109], v[69:70]
	v_mul_f64 v[108:109], v[148:149], s[6:7]
	v_add_f64 v[90:91], v[90:91], v[92:93]
	v_add_f64 v[69:70], v[240:241], v[69:70]
	v_fma_f64 v[92:93], v[176:177], s[24:25], v[108:109]
	v_mul_f64 v[240:241], v[188:189], s[28:29]
	v_fma_f64 v[108:109], v[176:177], s[56:57], v[108:109]
	v_add_f64 v[92:93], v[92:93], v[90:91]
	v_add_f64 v[90:91], v[94:95], v[88:89]
	;; [unrolled: 1-line block ×3, first 2 shown]
	v_fma_f64 v[69:70], v[194:195], s[52:53], v[98:99]
	v_fma_f64 v[94:95], v[204:205], s[54:55], v[240:241]
	v_mul_f64 v[96:97], v[202:203], s[10:11]
	v_fma_f64 v[98:99], v[194:195], s[34:35], v[98:99]
	v_add_f64 v[69:70], v[69:70], v[92:93]
	v_fma_f64 v[92:93], v[222:223], s[16:17], v[96:97]
	v_fma_f64 v[96:97], v[222:223], s[58:59], v[96:97]
	v_add_f64 v[69:70], v[94:95], v[69:70]
	v_fma_f64 v[94:95], v[126:127], s[30:31], v[246:247]
	v_add_f64 v[69:70], v[92:93], v[69:70]
	v_fma_f64 v[92:93], v[208:209], s[50:51], v[242:243]
	v_add_f64 v[69:70], v[92:93], v[69:70]
	v_fma_f64 v[92:93], v[116:117], s[38:39], v[244:245]
	v_add_f64 v[92:93], v[0:1], v[92:93]
	v_add_f64 v[92:93], v[94:95], v[92:93]
	v_fma_f64 v[94:95], v[138:139], s[6:7], v[248:249]
	v_add_f64 v[92:93], v[94:95], v[92:93]
	v_fma_f64 v[94:95], v[170:171], s[20:21], v[250:251]
	;; [unrolled: 2-line block ×5, first 2 shown]
	v_fma_f64 v[110:111], v[200:201], s[4:5], -v[110:111]
	v_add_f64 v[92:93], v[94:95], v[92:93]
	v_fma_f64 v[94:95], v[216:217], s[60:61], v[112:113]
	v_fma_f64 v[112:113], v[216:217], s[40:41], v[112:113]
	v_add_f64 v[94:95], v[94:95], v[69:70]
	v_mul_f64 v[69:70], v[226:227], s[40:41]
	v_fma_f64 v[114:115], v[212:213], s[26:27], v[69:70]
	v_fma_f64 v[69:70], v[212:213], s[26:27], -v[69:70]
	v_add_f64 v[92:93], v[114:115], v[92:93]
	v_fma_f64 v[114:115], v[140:141], s[46:47], v[236:237]
	v_fma_f64 v[236:237], v[152:153], s[36:37], v[238:239]
	v_mul_f64 v[238:239], v[214:215], s[26:27]
	v_add_f64 v[114:115], v[2:3], v[114:115]
	v_add_f64 v[114:115], v[236:237], v[114:115]
	v_fma_f64 v[236:237], v[126:127], s[30:31], -v[246:247]
	v_add_f64 v[108:109], v[108:109], v[114:115]
	v_fma_f64 v[114:115], v[116:117], s[38:39], -v[244:245]
	v_add_f64 v[98:99], v[98:99], v[108:109]
	v_add_f64 v[114:115], v[0:1], v[114:115]
	v_fma_f64 v[108:109], v[170:171], s[20:21], -v[250:251]
	v_add_f64 v[114:115], v[236:237], v[114:115]
	v_fma_f64 v[236:237], v[138:139], s[6:7], -v[248:249]
	v_add_f64 v[114:115], v[236:237], v[114:115]
	v_mul_f64 v[236:237], v[142:143], s[28:29]
	v_add_f64 v[108:109], v[108:109], v[114:115]
	v_fma_f64 v[114:115], v[204:205], s[44:45], v[240:241]
	v_mul_f64 v[240:241], v[150:151], s[16:17]
	v_add_f64 v[98:99], v[114:115], v[98:99]
	v_fma_f64 v[114:115], v[162:163], s[28:29], -v[252:253]
	v_add_f64 v[96:97], v[96:97], v[98:99]
	v_add_f64 v[108:109], v[114:115], v[108:109]
	v_fma_f64 v[98:99], v[184:185], s[10:11], -v[254:255]
	v_add_f64 v[114:115], v[0:1], v[60:61]
	v_add_f64 v[98:99], v[98:99], v[108:109]
	v_fma_f64 v[108:109], v[208:209], s[18:19], v[242:243]
	v_mul_f64 v[242:243], v[174:175], s[44:45]
	v_add_f64 v[98:99], v[110:111], v[98:99]
	v_add_f64 v[96:97], v[108:109], v[96:97]
	v_mul_f64 v[108:109], v[124:125], s[10:11]
	v_add_f64 v[110:111], v[2:3], v[62:63]
	v_fma_f64 v[244:245], v[126:127], s[28:29], v[242:243]
	v_add_f64 v[60:61], v[69:70], v[98:99]
	v_add_f64 v[62:63], v[112:113], v[96:97]
	v_fma_f64 v[69:70], v[140:141], s[58:59], v[108:109]
	v_mul_f64 v[96:97], v[148:149], s[38:39]
	v_add_f64 v[98:99], v[110:111], v[66:67]
	v_add_f64 v[110:111], v[114:115], v[64:65]
	v_fma_f64 v[64:65], v[152:153], s[54:55], v[236:237]
	v_mul_f64 v[112:113], v[172:173], s[4:5]
	v_mul_f64 v[114:115], v[202:203], s[30:31]
	v_add_f64 v[66:67], v[2:3], v[69:70]
	v_fma_f64 v[69:70], v[176:177], s[46:47], v[96:97]
	v_add_f64 v[58:59], v[98:99], v[58:59]
	v_fma_f64 v[98:99], v[140:141], s[16:17], v[108:109]
	v_fma_f64 v[108:109], v[152:153], s[44:45], v[236:237]
	v_fma_f64 v[96:97], v[176:177], s[48:49], v[96:97]
	v_add_f64 v[56:57], v[110:111], v[56:57]
	v_fma_f64 v[110:111], v[216:217], s[56:57], v[118:119]
	v_add_f64 v[64:65], v[64:65], v[66:67]
	v_fma_f64 v[66:67], v[194:195], s[18:19], v[112:113]
	v_add_f64 v[58:59], v[58:59], v[54:55]
	v_add_f64 v[98:99], v[2:3], v[98:99]
	;; [unrolled: 1-line block ×4, first 2 shown]
	v_mul_f64 v[69:70], v[188:189], s[20:21]
	v_add_f64 v[50:51], v[58:59], v[50:51]
	v_add_f64 v[98:99], v[108:109], v[98:99]
	;; [unrolled: 1-line block ×4, first 2 shown]
	v_fma_f64 v[66:67], v[204:205], s[52:53], v[69:70]
	v_fma_f64 v[69:70], v[204:205], s[34:35], v[69:70]
	v_add_f64 v[96:97], v[96:97], v[98:99]
	v_fma_f64 v[98:99], v[194:195], s[50:51], v[112:113]
	v_fma_f64 v[112:113], v[212:213], s[6:7], -v[120:121]
	v_add_f64 v[6:7], v[50:51], v[6:7]
	v_add_f64 v[4:5], v[48:49], v[4:5]
	;; [unrolled: 1-line block ×3, first 2 shown]
	v_fma_f64 v[66:67], v[222:223], s[36:37], v[114:115]
	v_add_f64 v[96:97], v[98:99], v[96:97]
	v_fma_f64 v[98:99], v[126:127], s[28:29], -v[242:243]
	v_add_f64 v[6:7], v[6:7], v[10:11]
	v_add_f64 v[4:5], v[4:5], v[8:9]
	;; [unrolled: 1-line block ×3, first 2 shown]
	v_fma_f64 v[66:67], v[208:209], s[40:41], v[238:239]
	v_add_f64 v[69:70], v[69:70], v[96:97]
	v_fma_f64 v[96:97], v[222:223], s[42:43], v[114:115]
	v_mul_f64 v[114:115], v[142:143], s[26:27]
	v_add_f64 v[6:7], v[6:7], v[14:15]
	v_add_f64 v[4:5], v[4:5], v[12:13]
	v_add_f64 v[64:65], v[66:67], v[64:65]
	v_fma_f64 v[66:67], v[116:117], s[10:11], v[240:241]
	v_add_f64 v[69:70], v[96:97], v[69:70]
	v_fma_f64 v[96:97], v[116:117], s[10:11], -v[240:241]
	v_add_f64 v[6:7], v[6:7], v[18:19]
	v_add_f64 v[4:5], v[4:5], v[16:17]
	;; [unrolled: 1-line block ×7, first 2 shown]
	v_mul_f64 v[244:245], v[190:191], s[48:49]
	v_add_f64 v[96:97], v[98:99], v[96:97]
	v_add_f64 v[6:7], v[6:7], v[26:27]
	;; [unrolled: 1-line block ×3, first 2 shown]
	v_fma_f64 v[246:247], v[138:139], s[38:39], v[244:245]
	v_fma_f64 v[98:99], v[138:139], s[38:39], -v[244:245]
	v_add_f64 v[6:7], v[6:7], v[30:31]
	v_add_f64 v[4:5], v[4:5], v[28:29]
	;; [unrolled: 1-line block ×3, first 2 shown]
	v_mul_f64 v[246:247], v[206:207], s[50:51]
	v_add_f64 v[96:97], v[98:99], v[96:97]
	v_add_f64 v[6:7], v[6:7], v[34:35]
	;; [unrolled: 1-line block ×3, first 2 shown]
	v_fma_f64 v[248:249], v[170:171], s[4:5], v[246:247]
	v_fma_f64 v[98:99], v[170:171], s[4:5], -v[246:247]
	v_add_f64 v[6:7], v[6:7], v[38:39]
	v_add_f64 v[4:5], v[4:5], v[36:37]
	;; [unrolled: 1-line block ×3, first 2 shown]
	v_mul_f64 v[248:249], v[220:221], s[34:35]
	v_add_f64 v[96:97], v[98:99], v[96:97]
	v_add_f64 v[26:27], v[6:7], v[42:43]
	;; [unrolled: 1-line block ×3, first 2 shown]
	v_fma_f64 v[250:251], v[162:163], s[20:21], v[248:249]
	v_fma_f64 v[98:99], v[162:163], s[20:21], -v[248:249]
	v_add_f64 v[66:67], v[250:251], v[66:67]
	v_mul_f64 v[250:251], v[228:229], s[42:43]
	v_add_f64 v[96:97], v[98:99], v[96:97]
	v_fma_f64 v[252:253], v[184:185], s[30:31], v[250:251]
	v_fma_f64 v[98:99], v[184:185], s[30:31], -v[250:251]
	v_add_f64 v[66:67], v[252:253], v[66:67]
	v_mul_f64 v[252:253], v[230:231], s[60:61]
	v_add_f64 v[96:97], v[98:99], v[96:97]
	v_fma_f64 v[98:99], v[208:209], s[60:61], v[238:239]
	v_fma_f64 v[254:255], v[200:201], s[26:27], v[252:253]
	v_fma_f64 v[108:109], v[200:201], s[26:27], -v[252:253]
	v_add_f64 v[69:70], v[98:99], v[69:70]
	v_mul_f64 v[98:99], v[124:125], s[20:21]
	v_add_f64 v[254:255], v[254:255], v[66:67]
	v_fma_f64 v[66:67], v[216:217], s[24:25], v[118:119]
	v_add_f64 v[96:97], v[108:109], v[96:97]
	v_mul_f64 v[108:109], v[150:151], s[34:35]
	v_fma_f64 v[118:119], v[140:141], s[52:53], v[98:99]
	v_fma_f64 v[98:99], v[140:141], s[34:35], v[98:99]
	v_add_f64 v[54:55], v[110:111], v[69:70]
	v_mul_f64 v[69:70], v[174:175], s[40:41]
	v_mul_f64 v[150:151], v[206:207], s[48:49]
	v_add_f64 v[66:67], v[66:67], v[64:65]
	v_add_f64 v[52:53], v[112:113], v[96:97]
	v_fma_f64 v[110:111], v[116:117], s[20:21], v[108:109]
	v_mul_f64 v[96:97], v[148:149], s[28:29]
	v_fma_f64 v[112:113], v[152:153], s[60:61], v[114:115]
	v_add_f64 v[118:119], v[2:3], v[118:119]
	v_fma_f64 v[114:115], v[152:153], s[40:41], v[114:115]
	v_add_f64 v[98:99], v[2:3], v[98:99]
	v_fma_f64 v[108:109], v[116:117], s[20:21], -v[108:109]
	v_fma_f64 v[64:65], v[212:213], s[6:7], v[120:121]
	v_fma_f64 v[56:57], v[126:127], s[26:27], v[69:70]
	v_add_f64 v[58:59], v[0:1], v[110:111]
	v_mul_f64 v[110:111], v[190:191], s[54:55]
	v_mul_f64 v[120:121], v[172:173], s[38:39]
	v_add_f64 v[112:113], v[112:113], v[118:119]
	v_fma_f64 v[118:119], v[176:177], s[44:45], v[96:97]
	v_fma_f64 v[96:97], v[176:177], s[54:55], v[96:97]
	v_add_f64 v[98:99], v[114:115], v[98:99]
	v_fma_f64 v[69:70], v[126:127], s[26:27], -v[69:70]
	v_add_f64 v[108:109], v[0:1], v[108:109]
	v_add_f64 v[56:57], v[56:57], v[58:59]
	v_fma_f64 v[58:59], v[138:139], s[28:29], v[110:111]
	v_fma_f64 v[140:141], v[194:195], s[46:47], v[120:121]
	;; [unrolled: 1-line block ×3, first 2 shown]
	v_fma_f64 v[110:111], v[138:139], s[28:29], -v[110:111]
	v_add_f64 v[96:97], v[96:97], v[98:99]
	v_mul_f64 v[174:175], v[220:221], s[56:57]
	v_add_f64 v[69:70], v[69:70], v[108:109]
	v_mul_f64 v[220:221], v[148:149], s[20:21]
	v_add_f64 v[56:57], v[58:59], v[56:57]
	v_fma_f64 v[58:59], v[170:171], s[38:39], v[150:151]
	v_mul_f64 v[148:149], v[148:149], s[26:27]
	v_fma_f64 v[150:151], v[170:171], s[38:39], -v[150:151]
	v_add_f64 v[96:97], v[120:121], v[96:97]
	v_mul_f64 v[120:121], v[142:143], s[6:7]
	v_mul_f64 v[142:143], v[142:143], s[10:11]
	v_add_f64 v[69:70], v[110:111], v[69:70]
	v_mul_f64 v[190:191], v[228:229], s[18:19]
	v_add_f64 v[56:57], v[58:59], v[56:57]
	v_fma_f64 v[58:59], v[162:163], s[6:7], v[174:175]
	v_add_f64 v[148:149], v[154:155], v[148:149]
	v_mul_f64 v[154:155], v[162:163], s[30:31]
	v_add_f64 v[112:113], v[118:119], v[112:113]
	v_add_f64 v[136:137], v[136:137], v[142:143]
	v_mul_f64 v[142:143], v[162:163], s[38:39]
	v_fma_f64 v[162:163], v[162:163], s[6:7], -v[174:175]
	v_add_f64 v[69:70], v[150:151], v[69:70]
	v_fma_f64 v[50:51], v[184:185], s[4:5], -v[190:191]
	v_mul_f64 v[118:119], v[188:189], s[6:7]
	v_mul_f64 v[194:195], v[124:125], s[4:5]
	;; [unrolled: 1-line block ×4, first 2 shown]
	v_add_f64 v[112:113], v[140:141], v[112:113]
	v_mul_f64 v[114:115], v[214:215], s[10:11]
	v_add_f64 v[69:70], v[162:163], v[69:70]
	v_mul_f64 v[176:177], v[116:117], s[4:5]
	v_fma_f64 v[140:141], v[204:205], s[24:25], v[118:119]
	v_mul_f64 v[98:99], v[116:117], s[6:7]
	v_add_f64 v[124:125], v[130:131], v[124:125]
	v_mul_f64 v[116:117], v[172:173], s[10:11]
	v_mul_f64 v[172:173], v[172:173], s[28:29]
	v_fma_f64 v[118:119], v[204:205], s[56:57], v[118:119]
	v_add_f64 v[10:11], v[50:51], v[69:70]
	buffer_load_dword v69, off, s[64:67], 0 offset:76 ; 4-byte Folded Reload
	buffer_load_dword v70, off, s[64:67], 0 offset:80 ; 4-byte Folded Reload
	;; [unrolled: 1-line block ×6, first 2 shown]
	v_add_f64 v[112:113], v[140:141], v[112:113]
	v_fma_f64 v[140:141], v[222:223], s[50:51], v[152:153]
	v_add_f64 v[124:125], v[2:3], v[124:125]
	v_mul_f64 v[204:205], v[126:127], s[6:7]
	v_add_f64 v[166:167], v[166:167], v[172:173]
	v_fma_f64 v[152:153], v[222:223], s[18:19], v[152:153]
	v_add_f64 v[96:97], v[118:119], v[96:97]
	v_mul_f64 v[108:109], v[202:203], s[26:27]
	v_mul_f64 v[202:203], v[202:203], s[38:39]
	v_add_f64 v[112:113], v[140:141], v[112:113]
	v_fma_f64 v[140:141], v[208:209], s[58:59], v[114:115]
	v_add_f64 v[124:125], v[136:137], v[124:125]
	v_mul_f64 v[172:173], v[214:215], s[30:31]
	v_mul_f64 v[214:215], v[214:215], s[20:21]
	v_fma_f64 v[114:115], v[208:209], s[16:17], v[114:115]
	v_add_f64 v[96:97], v[152:153], v[96:97]
	v_add_f64 v[198:199], v[198:199], v[202:203]
	v_mul_f64 v[206:207], v[230:231], s[16:17]
	v_add_f64 v[112:113], v[140:141], v[112:113]
	v_mul_f64 v[140:141], v[126:127], s[10:11]
	v_mul_f64 v[126:127], v[188:189], s[38:39]
	;; [unrolled: 1-line block ×3, first 2 shown]
	v_add_f64 v[124:125], v[148:149], v[124:125]
	v_add_f64 v[96:97], v[114:115], v[96:97]
	;; [unrolled: 1-line block ×4, first 2 shown]
	v_fma_f64 v[58:59], v[184:185], s[4:5], v[190:191]
	v_mul_f64 v[118:119], v[138:139], s[26:27]
	v_mul_f64 v[130:131], v[170:171], s[10:11]
	v_add_f64 v[188:189], v[196:197], v[188:189]
	v_add_f64 v[124:125], v[166:167], v[124:125]
	v_mul_f64 v[170:171], v[170:171], s[28:29]
	v_add_f64 v[22:23], v[132:133], v[116:117]
	v_mul_f64 v[136:137], v[184:185], s[26:27]
	v_add_f64 v[56:57], v[58:59], v[56:57]
	v_fma_f64 v[58:59], v[200:201], s[10:11], v[206:207]
	v_mul_f64 v[148:149], v[200:201], s[30:31]
	v_mul_f64 v[196:197], v[212:213], s[28:29]
	v_add_f64 v[124:125], v[188:189], v[124:125]
	v_add_f64 v[20:21], v[170:171], -v[134:135]
	v_fma_f64 v[8:9], v[200:201], s[10:11], -v[206:207]
	v_mul_f64 v[110:111], v[200:201], s[20:21]
	v_mul_f64 v[208:209], v[224:225], s[28:29]
	v_add_f64 v[56:57], v[58:59], v[56:57]
	v_mul_f64 v[58:59], v[138:139], s[20:21]
	v_add_f64 v[24:25], v[196:197], -v[182:183]
	v_add_f64 v[124:125], v[198:199], v[124:125]
	v_mul_f64 v[138:139], v[184:185], s[38:39]
	v_add_f64 v[28:29], v[8:9], v[10:11]
	v_mul_f64 v[166:167], v[224:225], s[30:31]
	v_mul_f64 v[174:175], v[212:213], s[4:5]
	;; [unrolled: 1-line block ×4, first 2 shown]
	v_add_f64 v[64:65], v[64:65], v[254:255]
	v_add_f64 v[114:115], v[114:115], v[124:125]
	v_fma_f64 v[48:49], v[216:217], s[42:43], v[166:167]
	v_fma_f64 v[150:151], v[216:217], s[36:37], v[166:167]
	v_add_f64 v[50:51], v[218:219], v[224:225]
	v_fma_f64 v[162:163], v[212:213], s[30:31], -v[222:223]
	v_fma_f64 v[152:153], v[212:213], s[30:31], v[222:223]
	v_add_f64 v[6:7], v[50:51], v[114:115]
	s_waitcnt vmcnt(4)
	v_add_f64 v[69:70], v[69:70], v[194:195]
	s_waitcnt vmcnt(2)
	v_add_f64 v[12:13], v[176:177], -v[12:13]
	s_waitcnt vmcnt(0)
	v_add_f64 v[14:15], v[98:99], -v[14:15]
	buffer_load_dword v98, off, s[64:67], 0 offset:108 ; 4-byte Folded Reload
	buffer_load_dword v99, off, s[64:67], 0 offset:112 ; 4-byte Folded Reload
	;; [unrolled: 1-line block ×4, first 2 shown]
	v_add_f64 v[2:3], v[2:3], v[69:70]
	buffer_load_dword v69, off, s[64:67], 0 offset:12 ; 4-byte Folded Reload
	buffer_load_dword v70, off, s[64:67], 0 offset:16 ; 4-byte Folded Reload
	;; [unrolled: 1-line block ×6, first 2 shown]
	v_add_f64 v[12:13], v[0:1], v[12:13]
	v_add_f64 v[0:1], v[0:1], v[14:15]
	v_add_f64 v[14:15], v[118:119], -v[122:123]
	s_waitcnt vmcnt(8)
	v_add_f64 v[98:99], v[140:141], -v[98:99]
	s_waitcnt vmcnt(6)
	v_add_f64 v[120:121], v[124:125], v[120:121]
	s_waitcnt vmcnt(4)
	v_add_f64 v[69:70], v[204:205], -v[69:70]
	s_waitcnt vmcnt(2)
	v_add_f64 v[16:17], v[16:17], v[220:221]
	s_waitcnt vmcnt(0)
	v_add_f64 v[18:19], v[58:59], -v[18:19]
	v_add_f64 v[2:3], v[120:121], v[2:3]
	v_add_f64 v[0:1], v[98:99], v[0:1]
	;; [unrolled: 1-line block ×4, first 2 shown]
	v_add_f64 v[16:17], v[130:131], -v[128:129]
	v_add_f64 v[0:1], v[14:15], v[0:1]
	v_add_f64 v[14:15], v[154:155], -v[160:161]
	v_add_f64 v[12:13], v[18:19], v[12:13]
	v_add_f64 v[18:19], v[146:147], v[126:127]
	;; [unrolled: 1-line block ×3, first 2 shown]
	v_add_f64 v[22:23], v[142:143], -v[144:145]
	v_add_f64 v[0:1], v[20:21], v[0:1]
	v_add_f64 v[20:21], v[158:159], v[108:109]
	v_add_f64 v[12:13], v[16:17], v[12:13]
	v_add_f64 v[16:17], v[138:139], -v[164:165]
	v_add_f64 v[2:3], v[18:19], v[2:3]
	v_add_f64 v[18:19], v[136:137], -v[156:157]
	v_add_f64 v[0:1], v[14:15], v[0:1]
	;; [unrolled: 2-line block ×3, first 2 shown]
	v_add_f64 v[22:23], v[178:179], v[172:173]
	v_add_f64 v[2:3], v[20:21], v[2:3]
	v_add_f64 v[20:21], v[148:149], -v[168:169]
	v_add_f64 v[0:1], v[16:17], v[0:1]
	v_add_f64 v[16:17], v[174:175], -v[192:193]
	v_add_f64 v[12:13], v[18:19], v[12:13]
	v_add_f64 v[18:19], v[186:187], v[208:209]
	;; [unrolled: 1-line block ×14, first 2 shown]
	buffer_load_dword v20, off, s[64:67], 0 ; 4-byte Folded Reload
	s_waitcnt vmcnt(0)
	v_mul_lo_u16_e32 v20, 17, v20
	v_lshlrev_b32_e32 v20, 4, v20
	ds_write_b128 v20, v[12:15]
	ds_write_b128 v20, v[8:11] offset:16
	ds_write_b128 v20, v[4:7] offset:32
	;; [unrolled: 1-line block ×16, first 2 shown]
.LBB0_7:
	s_or_b64 exec, exec, s[22:23]
	s_load_dwordx4 s[4:7], s[2:3], 0x0
	s_waitcnt lgkmcnt(0)
	s_barrier
	buffer_load_dword v42, off, s[64:67], 0 ; 4-byte Folded Reload
	s_movk_i32 s2, 0x66
	s_mov_b32 s10, 0xe8584caa
	s_mov_b32 s11, 0x3febb67a
	;; [unrolled: 1-line block ×4, first 2 shown]
	s_waitcnt vmcnt(0)
	v_add_co_u32_e32 v0, vcc, s2, v42
	v_addc_co_u32_e64 v1, s[2:3], 0, 0, vcc
	s_movk_i32 s2, 0xcc
	v_add_co_u32_e32 v178, vcc, s2, v42
	v_addc_co_u32_e64 v179, s[2:3], 0, 0, vcc
	s_movk_i32 s2, 0xf1
	v_mul_lo_u16_sdwa v2, v42, s2 dst_sel:DWORD dst_unused:UNUSED_PAD src0_sel:BYTE_0 src1_sel:DWORD
	v_lshrrev_b16_e32 v32, 12, v2
	v_mul_lo_u16_e32 v2, 17, v32
	v_sub_u16_e32 v2, v42, v2
	v_and_b32_e32 v33, 0xff, v2
	v_lshlrev_b32_e32 v2, 5, v33
	global_load_dwordx4 v[52:55], v2, s[8:9] offset:16
	global_load_dwordx4 v[56:59], v2, s[8:9]
	v_mul_lo_u16_sdwa v2, v0, s2 dst_sel:DWORD dst_unused:UNUSED_PAD src0_sel:BYTE_0 src1_sel:DWORD
	v_lshrrev_b16_e32 v34, 12, v2
	v_mul_lo_u16_e32 v2, 17, v34
	v_sub_u16_e32 v2, v0, v2
	v_and_b32_e32 v35, 0xff, v2
	v_lshlrev_b32_e32 v2, 5, v35
	s_mov_b32 s2, 0xf0f1
	global_load_dwordx4 v[43:46], v2, s[8:9] offset:16
	global_load_dwordx4 v[47:50], v2, s[8:9]
	v_mul_u32_u24_sdwa v2, v178, s2 dst_sel:DWORD dst_unused:UNUSED_PAD src0_sel:WORD_0 src1_sel:DWORD
	v_lshrrev_b32_e32 v36, 20, v2
	v_mul_lo_u16_e32 v2, 17, v36
	v_sub_u16_e32 v37, v178, v2
	v_lshlrev_b16_e32 v2, 1, v37
	v_lshlrev_b32_e32 v2, 4, v2
	global_load_dwordx4 v[128:131], v2, s[8:9]
	global_load_dwordx4 v[124:127], v2, s[8:9] offset:16
	s_movk_i32 s3, 0x132
	v_add_co_u32_e32 v2, vcc, s3, v42
	v_mul_u32_u24_sdwa v3, v2, s2 dst_sel:DWORD dst_unused:UNUSED_PAD src0_sel:WORD_0 src1_sel:DWORD
	v_lshrrev_b32_e32 v38, 20, v3
	v_mul_lo_u16_e32 v3, 17, v38
	v_sub_u16_e32 v39, v2, v3
	v_lshlrev_b16_e32 v2, 1, v39
	v_lshlrev_b32_e32 v2, 4, v2
	s_movk_i32 s3, 0x198
	global_load_dwordx4 v[136:139], v2, s[8:9]
	global_load_dwordx4 v[132:135], v2, s[8:9] offset:16
	v_add_co_u32_e32 v2, vcc, s3, v42
	v_mul_u32_u24_sdwa v3, v2, s2 dst_sel:DWORD dst_unused:UNUSED_PAD src0_sel:WORD_0 src1_sel:DWORD
	v_lshrrev_b32_e32 v40, 20, v3
	v_mul_lo_u16_e32 v3, 17, v40
	v_sub_u16_e32 v41, v2, v3
	v_lshlrev_b16_e32 v2, 1, v41
	v_lshlrev_b32_e32 v2, 4, v2
	global_load_dwordx4 v[144:147], v2, s[8:9]
	global_load_dwordx4 v[140:143], v2, s[8:9] offset:16
	v_mov_b32_e32 v2, 4
	v_lshlrev_b32_sdwa v70, v2, v42 dst_sel:DWORD dst_unused:UNUSED_PAD src0_sel:DWORD src1_sel:WORD_0
	ds_read_b128 v[2:5], v70
	ds_read_b128 v[6:9], v70 offset:1632
	ds_read_b128 v[10:13], v70 offset:16320
	;; [unrolled: 1-line block ×14, first 2 shown]
	v_cmp_gt_u16_e64 s[2:3], 51, v42
	s_waitcnt vmcnt(9) lgkmcnt(12)
	v_mul_f64 v[108:109], v[10:11], v[54:55]
	s_waitcnt vmcnt(8) lgkmcnt(4)
	v_mul_f64 v[30:31], v[77:78], v[58:59]
	v_mul_f64 v[95:96], v[75:76], v[58:59]
	;; [unrolled: 1-line block ×3, first 2 shown]
	s_waitcnt vmcnt(7)
	v_mul_f64 v[114:115], v[16:17], v[45:46]
	s_waitcnt vmcnt(6)
	v_mul_f64 v[110:111], v[20:21], v[49:50]
	v_mul_f64 v[112:113], v[18:19], v[49:50]
	;; [unrolled: 1-line block ×3, first 2 shown]
	v_fma_f64 v[30:31], v[75:76], v[56:57], -v[30:31]
	v_fma_f64 v[75:76], v[77:78], v[56:57], v[95:96]
	v_fma_f64 v[12:13], v[12:13], v[52:53], v[108:109]
	s_waitcnt vmcnt(5)
	v_mul_f64 v[118:119], v[24:25], v[130:131]
	s_waitcnt vmcnt(4)
	v_mul_f64 v[122:123], v[66:67], v[126:127]
	v_fma_f64 v[18:19], v[18:19], v[47:48], -v[110:111]
	buffer_store_dword v47, off, s[64:67], 0 offset:44 ; 4-byte Folded Spill
	s_nop 0
	buffer_store_dword v48, off, s[64:67], 0 offset:48 ; 4-byte Folded Spill
	buffer_store_dword v49, off, s[64:67], 0 offset:52 ; 4-byte Folded Spill
	;; [unrolled: 1-line block ×3, first 2 shown]
	v_mul_f64 v[120:121], v[22:23], v[130:131]
	v_fma_f64 v[95:96], v[14:15], v[43:44], -v[114:115]
	buffer_store_dword v43, off, s[64:67], 0 offset:28 ; 4-byte Folded Spill
	s_nop 0
	buffer_store_dword v44, off, s[64:67], 0 offset:32 ; 4-byte Folded Spill
	buffer_store_dword v45, off, s[64:67], 0 offset:36 ; 4-byte Folded Spill
	;; [unrolled: 1-line block ×3, first 2 shown]
	v_fma_f64 v[77:78], v[10:11], v[52:53], -v[97:98]
	v_fma_f64 v[108:109], v[22:23], v[128:129], -v[118:119]
	buffer_store_dword v128, off, s[64:67], 0 offset:76 ; 4-byte Folded Spill
	s_nop 0
	buffer_store_dword v129, off, s[64:67], 0 offset:80 ; 4-byte Folded Spill
	buffer_store_dword v130, off, s[64:67], 0 offset:84 ; 4-byte Folded Spill
	;; [unrolled: 1-line block ×3, first 2 shown]
	v_mul_f64 v[10:11], v[64:65], v[126:127]
	v_fma_f64 v[64:65], v[64:65], v[124:125], -v[122:123]
	buffer_store_dword v124, off, s[64:67], 0 offset:60 ; 4-byte Folded Spill
	s_nop 0
	buffer_store_dword v125, off, s[64:67], 0 offset:64 ; 4-byte Folded Spill
	buffer_store_dword v126, off, s[64:67], 0 offset:68 ; 4-byte Folded Spill
	;; [unrolled: 1-line block ×3, first 2 shown]
	s_waitcnt vmcnt(19) lgkmcnt(2)
	v_mul_f64 v[14:15], v[85:86], v[138:139]
	s_waitcnt vmcnt(18)
	v_mul_f64 v[22:23], v[73:74], v[134:135]
	v_fma_f64 v[114:115], v[71:72], v[132:133], -v[22:23]
	s_waitcnt vmcnt(17) lgkmcnt(1)
	v_mul_f64 v[22:23], v[87:88], v[146:147]
	v_fma_f64 v[20:21], v[20:21], v[47:48], v[112:113]
	v_fma_f64 v[112:113], v[83:84], v[136:137], -v[14:15]
	v_mul_f64 v[14:15], v[89:90], v[146:147]
	v_fma_f64 v[97:98], v[16:17], v[43:44], v[116:117]
	v_mul_f64 v[16:17], v[83:84], v[138:139]
	buffer_store_dword v136, off, s[64:67], 0 offset:108 ; 4-byte Folded Spill
	s_nop 0
	buffer_store_dword v137, off, s[64:67], 0 offset:112 ; 4-byte Folded Spill
	buffer_store_dword v138, off, s[64:67], 0 offset:116 ; 4-byte Folded Spill
	;; [unrolled: 1-line block ×3, first 2 shown]
	v_fma_f64 v[110:111], v[24:25], v[128:129], v[120:121]
	s_waitcnt vmcnt(20) lgkmcnt(0)
	v_mul_f64 v[24:25], v[93:94], v[142:143]
	v_fma_f64 v[66:67], v[66:67], v[124:125], v[10:11]
	v_mul_f64 v[10:11], v[71:72], v[134:135]
	buffer_store_dword v132, off, s[64:67], 0 offset:92 ; 4-byte Folded Spill
	s_nop 0
	buffer_store_dword v133, off, s[64:67], 0 offset:96 ; 4-byte Folded Spill
	buffer_store_dword v134, off, s[64:67], 0 offset:100 ; 4-byte Folded Spill
	;; [unrolled: 1-line block ×3, first 2 shown]
	v_fma_f64 v[87:88], v[87:88], v[144:145], -v[14:15]
	buffer_store_dword v144, off, s[64:67], 0 offset:140 ; 4-byte Folded Spill
	s_nop 0
	buffer_store_dword v145, off, s[64:67], 0 offset:144 ; 4-byte Folded Spill
	buffer_store_dword v146, off, s[64:67], 0 offset:148 ; 4-byte Folded Spill
	;; [unrolled: 1-line block ×3, first 2 shown]
	v_mul_f64 v[71:72], v[91:92], v[142:143]
	v_fma_f64 v[91:92], v[91:92], v[140:141], -v[24:25]
	buffer_store_dword v140, off, s[64:67], 0 offset:124 ; 4-byte Folded Spill
	s_nop 0
	buffer_store_dword v141, off, s[64:67], 0 offset:128 ; 4-byte Folded Spill
	buffer_store_dword v142, off, s[64:67], 0 offset:132 ; 4-byte Folded Spill
	;; [unrolled: 1-line block ×3, first 2 shown]
	v_add_f64 v[24:25], v[4:5], v[75:76]
	v_add_f64 v[83:84], v[112:113], v[114:115]
	s_waitcnt vmcnt(0)
	s_barrier
	v_fma_f64 v[83:84], v[83:84], -0.5, v[60:61]
	v_fma_f64 v[85:86], v[85:86], v[136:137], v[16:17]
	v_add_f64 v[16:17], v[30:31], v[77:78]
                                        ; implicit-def: $vgpr136_vgpr137
	v_fma_f64 v[116:117], v[73:74], v[132:133], v[10:11]
	v_add_f64 v[10:11], v[2:3], v[30:31]
	v_fma_f64 v[89:90], v[89:90], v[144:145], v[22:23]
	v_add_f64 v[22:23], v[75:76], v[12:13]
	v_fma_f64 v[14:15], v[16:17], -0.5, v[2:3]
	v_fma_f64 v[93:94], v[93:94], v[140:141], v[71:72]
	v_add_f64 v[71:72], v[18:19], v[95:96]
	v_add_f64 v[16:17], v[75:76], -v[12:13]
	v_add_f64 v[30:31], v[30:31], -v[77:78]
	v_add_f64 v[73:74], v[6:7], v[18:19]
	v_add_f64 v[75:76], v[20:21], -v[97:98]
	v_fma_f64 v[22:23], v[22:23], -0.5, v[4:5]
	v_add_f64 v[4:5], v[24:25], v[12:13]
	v_add_f64 v[24:25], v[20:21], v[97:98]
	v_fma_f64 v[71:72], v[71:72], -0.5, v[6:7]
	v_add_f64 v[2:3], v[10:11], v[77:78]
	v_fma_f64 v[10:11], v[16:17], s[10:11], v[14:15]
	v_fma_f64 v[14:15], v[16:17], s[16:17], v[14:15]
	v_add_f64 v[20:21], v[8:9], v[20:21]
	v_fma_f64 v[12:13], v[30:31], s[16:17], v[22:23]
	v_fma_f64 v[16:17], v[30:31], s[10:11], v[22:23]
	v_add_f64 v[30:31], v[108:109], v[64:65]
	v_add_f64 v[6:7], v[73:74], v[95:96]
	v_fma_f64 v[24:25], v[24:25], -0.5, v[8:9]
	v_add_f64 v[73:74], v[18:19], -v[95:96]
	v_fma_f64 v[18:19], v[75:76], s[10:11], v[71:72]
	v_fma_f64 v[22:23], v[75:76], s[16:17], v[71:72]
	v_add_f64 v[71:72], v[110:111], v[66:67]
	v_add_f64 v[75:76], v[26:27], v[108:109]
	v_fma_f64 v[30:31], v[30:31], -0.5, v[26:27]
	v_add_f64 v[77:78], v[110:111], -v[66:67]
	v_add_f64 v[8:9], v[20:21], v[97:98]
	v_fma_f64 v[20:21], v[73:74], s[16:17], v[24:25]
	v_fma_f64 v[24:25], v[73:74], s[10:11], v[24:25]
	v_add_f64 v[73:74], v[28:29], v[110:111]
	v_fma_f64 v[95:96], v[71:72], -0.5, v[28:29]
	v_add_f64 v[97:98], v[108:109], -v[64:65]
	v_add_f64 v[26:27], v[75:76], v[64:65]
	v_fma_f64 v[64:65], v[77:78], s[10:11], v[30:31]
	v_fma_f64 v[71:72], v[77:78], s[16:17], v[30:31]
	v_add_f64 v[30:31], v[85:86], v[116:117]
	v_add_f64 v[75:76], v[60:61], v[112:113]
	v_add_f64 v[108:109], v[85:86], -v[116:117]
	v_add_f64 v[28:29], v[73:74], v[66:67]
	v_fma_f64 v[66:67], v[97:98], s[16:17], v[95:96]
	v_fma_f64 v[73:74], v[97:98], s[10:11], v[95:96]
	v_add_f64 v[77:78], v[87:88], v[91:92]
	v_add_f64 v[95:96], v[89:90], v[93:94]
	;; [unrolled: 1-line block ×3, first 2 shown]
	v_fma_f64 v[30:31], v[30:31], -0.5, v[62:63]
	v_add_f64 v[97:98], v[112:113], -v[114:115]
	v_add_f64 v[60:61], v[75:76], v[114:115]
	v_fma_f64 v[75:76], v[108:109], s[10:11], v[83:84]
	v_fma_f64 v[83:84], v[108:109], s[16:17], v[83:84]
	v_add_f64 v[108:109], v[79:80], v[87:88]
	v_fma_f64 v[79:80], v[77:78], -0.5, v[79:80]
	v_add_f64 v[110:111], v[89:90], -v[93:94]
	v_add_f64 v[89:90], v[81:82], v[89:90]
	v_fma_f64 v[81:82], v[95:96], -0.5, v[81:82]
	v_add_f64 v[87:88], v[87:88], -v[91:92]
	v_add_f64 v[62:63], v[85:86], v[116:117]
	v_fma_f64 v[77:78], v[97:98], s[16:17], v[30:31]
	v_fma_f64 v[85:86], v[97:98], s[10:11], v[30:31]
	v_mul_u32_u24_e32 v30, 51, v32
	v_add_lshl_u32 v30, v30, v33, 4
	v_add_f64 v[108:109], v[108:109], v[91:92]
	v_fma_f64 v[116:117], v[110:111], s[10:11], v[79:80]
	v_fma_f64 v[120:121], v[110:111], s[16:17], v[79:80]
	v_add_f64 v[110:111], v[89:90], v[93:94]
	v_fma_f64 v[122:123], v[87:88], s[10:11], v[81:82]
	ds_write_b128 v30, v[2:5]
	ds_write_b128 v30, v[10:13] offset:272
	v_mul_u32_u24_e32 v2, 51, v34
	v_fma_f64 v[118:119], v[87:88], s[16:17], v[81:82]
	v_add_lshl_u32 v2, v2, v35, 4
	buffer_store_dword v30, off, s[64:67], 0 offset:156 ; 4-byte Folded Spill
	ds_write_b128 v30, v[14:17] offset:544
	ds_write_b128 v2, v[6:9]
	ds_write_b128 v2, v[18:21] offset:272
	buffer_store_dword v2, off, s[64:67], 0 offset:160 ; 4-byte Folded Spill
	ds_write_b128 v2, v[22:25] offset:544
	v_mad_legacy_u16 v2, v36, 51, v37
	v_lshlrev_b32_e32 v2, 4, v2
	ds_write_b128 v2, v[26:29]
	ds_write_b128 v2, v[64:67] offset:272
	buffer_store_dword v2, off, s[64:67], 0 offset:164 ; 4-byte Folded Spill
	ds_write_b128 v2, v[71:74] offset:544
	v_mad_legacy_u16 v2, v38, 51, v39
	v_lshlrev_b32_e32 v2, 4, v2
	;; [unrolled: 6-line block ×3, first 2 shown]
	ds_write_b128 v2, v[108:111]
	ds_write_b128 v2, v[116:119] offset:272
	buffer_store_dword v2, off, s[64:67], 0 offset:188 ; 4-byte Folded Spill
	ds_write_b128 v2, v[120:123] offset:544
	s_waitcnt vmcnt(0) lgkmcnt(0)
	s_barrier
	ds_read_b128 v[124:127], v70
	ds_read_b128 v[112:115], v70 offset:1632
	ds_read_b128 v[152:155], v70 offset:4080
	;; [unrolled: 1-line block ×11, first 2 shown]
	s_and_saveexec_b64 s[18:19], s[2:3]
	s_cbranch_execz .LBB0_9
; %bb.8:
	ds_read_b128 v[108:111], v70 offset:3264
	ds_read_b128 v[116:119], v70 offset:7344
	;; [unrolled: 1-line block ×6, first 2 shown]
.LBB0_9:
	s_or_b64 exec, exec, s[18:19]
	buffer_load_dword v35, off, s[64:67], 0 ; 4-byte Folded Reload
	v_mov_b32_e32 v4, s9
	s_movk_i32 s19, 0xa1
	s_movk_i32 s18, 0x50
	v_mov_b32_e32 v34, 0x132
	s_waitcnt vmcnt(0)
	v_subrev_u32_e32 v2, 51, v35
	v_cndmask_b32_e64 v26, v2, v35, s[2:3]
	v_mul_i32_i24_e32 v2, 0x50, v26
	v_mul_hi_i32_i24_e32 v3, 0x50, v26
	v_add_co_u32_e32 v2, vcc, s8, v2
	v_addc_co_u32_e32 v3, vcc, v4, v3, vcc
	global_load_dwordx4 v[64:67], v[2:3], off offset:592
	global_load_dwordx4 v[71:74], v[2:3], off offset:576
	;; [unrolled: 1-line block ×5, first 2 shown]
	v_mul_lo_u16_sdwa v2, v0, s19 dst_sel:DWORD dst_unused:UNUSED_PAD src0_sel:BYTE_0 src1_sel:DWORD
	v_lshrrev_b16_e32 v27, 13, v2
	v_mul_lo_u16_e32 v2, 51, v27
	s_mov_b32 s19, 0xa0a1
	v_sub_u16_e32 v5, v0, v2
	v_mul_u32_u24_sdwa v2, v178, s19 dst_sel:DWORD dst_unused:UNUSED_PAD src0_sel:WORD_0 src1_sel:DWORD
	v_lshrrev_b32_e32 v2, 21, v2
	v_mul_lo_u16_e32 v2, 51, v2
	v_sub_u16_e32 v32, v178, v2
	v_mul_lo_u16_e32 v2, 0x50, v32
	v_add_co_u32_e32 v2, vcc, s8, v2
	v_addc_co_u32_e32 v3, vcc, 0, v4, vcc
	global_load_dwordx4 v[36:39], v[2:3], off offset:560
	global_load_dwordx4 v[40:43], v[2:3], off offset:544
	;; [unrolled: 1-line block ×4, first 2 shown]
	v_and_b32_e32 v33, 0xff, v5
	v_mov_b32_e32 v4, s8
	v_mov_b32_e32 v5, s9
	v_mad_u64_u32 v[4:5], s[18:19], v33, s18, v[4:5]
	global_load_dwordx4 v[60:63], v[2:3], off offset:608
	global_load_dwordx4 v[96:99], v[4:5], off offset:544
	;; [unrolled: 1-line block ×6, first 2 shown]
	v_cmp_lt_u16_e32 vcc, 50, v35
	v_cndmask_b32_e32 v34, 0, v34, vcc
	s_waitcnt vmcnt(14) lgkmcnt(3)
	v_mul_f64 v[14:15], v[166:167], v[66:67]
	s_waitcnt vmcnt(13)
	v_mul_f64 v[10:11], v[162:163], v[73:74]
	s_waitcnt vmcnt(12)
	;; [unrolled: 2-line block ×3, first 2 shown]
	v_mul_f64 v[2:3], v[154:155], v[212:213]
	v_mul_f64 v[4:5], v[152:153], v[212:213]
	;; [unrolled: 1-line block ×5, first 2 shown]
	v_fma_f64 v[14:15], v[164:165], v[64:65], -v[14:15]
	v_fma_f64 v[10:11], v[160:161], v[71:72], -v[10:11]
	;; [unrolled: 1-line block ×4, first 2 shown]
	buffer_store_dword v210, off, s[64:67], 0 offset:224 ; 4-byte Folded Spill
	s_nop 0
	buffer_store_dword v211, off, s[64:67], 0 offset:228 ; 4-byte Folded Spill
	buffer_store_dword v212, off, s[64:67], 0 offset:232 ; 4-byte Folded Spill
	buffer_store_dword v213, off, s[64:67], 0 offset:236 ; 4-byte Folded Spill
	buffer_store_dword v206, off, s[64:67], 0 offset:208 ; 4-byte Folded Spill
	s_nop 0
	buffer_store_dword v207, off, s[64:67], 0 offset:212 ; 4-byte Folded Spill
	buffer_store_dword v208, off, s[64:67], 0 offset:216 ; 4-byte Folded Spill
	buffer_store_dword v209, off, s[64:67], 0 offset:220 ; 4-byte Folded Spill
	;; [unrolled: 5-line block ×4, first 2 shown]
	s_waitcnt vmcnt(26) lgkmcnt(1)
	v_mul_f64 v[18:19], v[170:171], v[78:79]
	v_mul_f64 v[20:21], v[168:169], v[78:79]
	s_waitcnt vmcnt(25)
	v_mul_f64 v[28:29], v[122:123], v[38:39]
	s_waitcnt vmcnt(24)
	v_mul_f64 v[22:23], v[118:119], v[42:43]
	v_mul_f64 v[24:25], v[116:117], v[42:43]
	;; [unrolled: 1-line block ×3, first 2 shown]
	s_waitcnt vmcnt(22)
	v_mul_f64 v[172:173], v[102:103], v[50:51]
	v_mul_f64 v[176:177], v[106:107], v[46:47]
	;; [unrolled: 1-line block ×4, first 2 shown]
	v_fma_f64 v[152:153], v[120:121], v[36:37], -v[28:29]
	v_fma_f64 v[22:23], v[116:117], v[40:41], -v[22:23]
	buffer_store_dword v40, off, s[64:67], 0 offset:276 ; 4-byte Folded Spill
	s_nop 0
	buffer_store_dword v41, off, s[64:67], 0 offset:280 ; 4-byte Folded Spill
	buffer_store_dword v42, off, s[64:67], 0 offset:284 ; 4-byte Folded Spill
	;; [unrolled: 1-line block ×4, first 2 shown]
	s_nop 0
	buffer_store_dword v37, off, s[64:67], 0 offset:264 ; 4-byte Folded Spill
	buffer_store_dword v38, off, s[64:67], 0 offset:268 ; 4-byte Folded Spill
	;; [unrolled: 1-line block ×3, first 2 shown]
	v_fma_f64 v[156:157], v[100:101], v[48:49], -v[172:173]
	buffer_store_dword v48, off, s[64:67], 0 offset:308 ; 4-byte Folded Spill
	s_nop 0
	buffer_store_dword v49, off, s[64:67], 0 offset:312 ; 4-byte Folded Spill
	buffer_store_dword v50, off, s[64:67], 0 offset:316 ; 4-byte Folded Spill
	;; [unrolled: 1-line block ×3, first 2 shown]
	v_fma_f64 v[160:161], v[104:105], v[44:45], -v[176:177]
	buffer_store_dword v44, off, s[64:67], 0 offset:292 ; 4-byte Folded Spill
	s_nop 0
	buffer_store_dword v45, off, s[64:67], 0 offset:296 ; 4-byte Folded Spill
	buffer_store_dword v46, off, s[64:67], 0 offset:300 ; 4-byte Folded Spill
	;; [unrolled: 1-line block ×3, first 2 shown]
	s_waitcnt vmcnt(32) lgkmcnt(0)
	v_mul_f64 v[202:203], v[130:131], v[82:83]
	v_mul_f64 v[182:183], v[138:139], v[62:63]
	;; [unrolled: 1-line block ×4, first 2 shown]
	v_fma_f64 v[18:19], v[168:169], v[76:77], -v[18:19]
	v_fma_f64 v[20:21], v[170:171], v[76:77], v[20:21]
	v_add_f64 v[28:29], v[6:7], v[14:15]
	v_mul_f64 v[186:187], v[142:143], v[98:99]
	v_fma_f64 v[128:129], v[128:129], v[80:81], -v[202:203]
	buffer_store_dword v80, off, s[64:67], 0 offset:244 ; 4-byte Folded Spill
	s_nop 0
	buffer_store_dword v81, off, s[64:67], 0 offset:248 ; 4-byte Folded Spill
	buffer_store_dword v82, off, s[64:67], 0 offset:252 ; 4-byte Folded Spill
	;; [unrolled: 1-line block ×3, first 2 shown]
	v_fma_f64 v[164:165], v[136:137], v[60:61], -v[182:183]
	buffer_store_dword v60, off, s[64:67], 0 offset:324 ; 4-byte Folded Spill
	s_nop 0
	buffer_store_dword v61, off, s[64:67], 0 offset:328 ; 4-byte Folded Spill
	buffer_store_dword v62, off, s[64:67], 0 offset:332 ; 4-byte Folded Spill
	;; [unrolled: 1-line block ×3, first 2 shown]
	v_add_f64 v[100:101], v[10:11], v[18:19]
	v_add_f64 v[116:117], v[10:11], -v[18:19]
	v_fma_f64 v[28:29], v[28:29], -0.5, v[124:125]
	v_mul_f64 v[188:189], v[140:141], v[98:99]
	v_mul_f64 v[190:191], v[146:147], v[94:95]
	;; [unrolled: 1-line block ×5, first 2 shown]
	v_fma_f64 v[100:101], v[100:101], -0.5, v[2:3]
	v_mul_f64 v[198:199], v[134:135], v[86:87]
	v_mul_f64 v[200:201], v[132:133], v[86:87]
	v_fma_f64 v[136:137], v[140:141], v[96:97], -v[186:187]
	v_fma_f64 v[140:141], v[142:143], v[96:97], v[188:189]
	v_fma_f64 v[142:143], v[144:145], v[92:93], -v[190:191]
	v_fma_f64 v[144:145], v[146:147], v[92:93], v[192:193]
	;; [unrolled: 2-line block ×3, first 2 shown]
	v_fma_f64 v[132:133], v[132:133], v[84:85], -v[198:199]
	v_add_f64 v[2:3], v[2:3], v[10:11]
	v_fma_f64 v[134:135], v[134:135], v[84:85], v[200:201]
	v_add_lshl_u32 v73, v26, v34, 4
	v_mul_u32_u24_e32 v26, 0x132, v27
	v_add_lshl_u32 v69, v26, v33, 4
	v_lshlrev_b32_e32 v26, 4, v32
	v_add_f64 v[2:3], v[2:3], v[18:19]
	v_fma_f64 v[4:5], v[154:155], v[210:211], v[4:5]
	v_fma_f64 v[8:9], v[158:159], v[206:207], v[8:9]
	;; [unrolled: 1-line block ×4, first 2 shown]
	v_add_f64 v[104:105], v[8:9], -v[16:17]
	v_fma_f64 v[24:25], v[118:119], v[40:41], v[24:25]
	v_fma_f64 v[154:155], v[122:123], v[36:37], v[30:31]
	v_add_f64 v[30:31], v[12:13], v[20:21]
	v_fma_f64 v[158:159], v[102:103], v[48:49], v[174:175]
	v_add_f64 v[102:103], v[124:125], v[6:7]
	v_fma_f64 v[162:163], v[106:107], v[44:45], v[180:181]
	v_add_f64 v[106:107], v[12:13], -v[20:21]
	v_fma_f64 v[122:123], v[104:105], s[10:11], v[28:29]
	v_fma_f64 v[124:125], v[104:105], s[16:17], v[28:29]
	v_add_f64 v[118:119], v[8:9], v[16:17]
	v_fma_f64 v[30:31], v[30:31], -0.5, v[4:5]
	v_add_f64 v[6:7], v[6:7], -v[14:15]
	v_add_f64 v[120:121], v[102:103], v[14:15]
	v_add_f64 v[4:5], v[4:5], v[12:13]
	v_fma_f64 v[102:103], v[106:107], s[16:17], v[100:101]
	v_fma_f64 v[130:131], v[130:131], v[80:81], v[204:205]
	;; [unrolled: 1-line block ×3, first 2 shown]
	v_add_f64 v[8:9], v[126:127], v[8:9]
	v_fma_f64 v[28:29], v[116:117], s[16:17], v[30:31]
	v_fma_f64 v[30:31], v[116:117], s[10:11], v[30:31]
	v_fma_f64 v[104:105], v[118:119], -0.5, v[126:127]
	v_add_f64 v[4:5], v[4:5], v[20:21]
	v_mul_f64 v[14:15], v[102:103], -0.5
	v_fma_f64 v[18:19], v[138:139], v[60:61], v[184:185]
	v_mul_f64 v[12:13], v[100:101], s[16:17]
	v_add_f64 v[20:21], v[142:143], v[132:133]
	v_mul_f64 v[10:11], v[28:29], s[10:11]
	v_add_f64 v[118:119], v[146:147], v[128:129]
	v_add_f64 v[138:139], v[148:149], v[130:131]
	;; [unrolled: 1-line block ×3, first 2 shown]
	v_fma_f64 v[14:15], v[30:31], s[10:11], v[14:15]
	v_mul_f64 v[16:17], v[30:31], -0.5
	v_fma_f64 v[126:127], v[6:7], s[16:17], v[104:105]
	v_fma_f64 v[12:13], v[28:29], 0.5, v[12:13]
	v_fma_f64 v[10:11], v[100:101], 0.5, v[10:11]
	v_fma_f64 v[6:7], v[6:7], s[10:11], v[104:105]
	v_add_f64 v[28:29], v[120:121], v[2:3]
	v_add_f64 v[116:117], v[120:121], -v[2:3]
	v_add_f64 v[104:105], v[124:125], v[14:15]
	v_add_f64 v[124:125], v[124:125], -v[14:15]
	;; [unrolled: 2-line block ×4, first 2 shown]
	v_fma_f64 v[10:11], v[20:21], -0.5, v[112:113]
	v_fma_f64 v[20:21], v[118:119], -0.5, v[136:137]
	;; [unrolled: 1-line block ×3, first 2 shown]
	v_add_f64 v[138:139], v[146:147], -v[128:129]
	v_add_f64 v[150:151], v[148:149], -v[130:131]
	v_fma_f64 v[16:17], v[102:103], s[16:17], v[16:17]
	v_add_f64 v[30:31], v[8:9], v[4:5]
	v_add_f64 v[102:103], v[126:127], v[12:13]
	v_add_f64 v[118:119], v[8:9], -v[4:5]
	v_add_f64 v[122:123], v[126:127], -v[12:13]
	v_add_f64 v[4:5], v[144:145], v[134:135]
	v_fma_f64 v[8:9], v[14:15], s[10:11], v[10:11]
	v_fma_f64 v[10:11], v[14:15], s[16:17], v[10:11]
	;; [unrolled: 1-line block ×4, first 2 shown]
	v_add_f64 v[126:127], v[114:115], v[144:145]
	v_fma_f64 v[20:21], v[150:151], s[10:11], v[20:21]
	v_fma_f64 v[112:113], v[138:139], s[10:11], v[112:113]
	v_add_f64 v[2:3], v[2:3], v[132:133]
	v_fma_f64 v[4:5], v[4:5], -0.5, v[114:115]
	v_add_f64 v[114:115], v[142:143], -v[132:133]
	v_add_f64 v[132:133], v[136:137], v[146:147]
	v_mul_f64 v[136:137], v[12:13], s[10:11]
	v_mul_f64 v[138:139], v[14:15], -0.5
	v_mul_f64 v[142:143], v[20:21], s[16:17]
	v_add_f64 v[146:147], v[126:127], v[134:135]
	v_mul_f64 v[126:127], v[112:113], -0.5
	v_add_f64 v[106:107], v[6:7], v[16:17]
	v_add_f64 v[140:141], v[140:141], v[148:149]
	v_fma_f64 v[148:149], v[114:115], s[16:17], v[4:5]
	v_add_f64 v[144:145], v[132:133], v[128:129]
	v_fma_f64 v[20:21], v[20:21], 0.5, v[136:137]
	v_fma_f64 v[138:139], v[112:113], s[10:11], v[138:139]
	v_fma_f64 v[142:143], v[12:13], 0.5, v[142:143]
	v_fma_f64 v[166:167], v[114:115], s[10:11], v[4:5]
	v_fma_f64 v[168:169], v[14:15], s[16:17], v[126:127]
	v_add_f64 v[126:127], v[6:7], -v[16:17]
	v_add_f64 v[4:5], v[152:153], v[160:161]
	v_add_f64 v[6:7], v[156:157], v[164:165]
	;; [unrolled: 1-line block ×7, first 2 shown]
	v_add_f64 v[136:137], v[2:3], -v[144:145]
	v_add_f64 v[140:141], v[8:9], -v[20:21]
	;; [unrolled: 1-line block ×3, first 2 shown]
	v_add_f64 v[2:3], v[108:109], v[152:153]
	v_fma_f64 v[8:9], v[4:5], -0.5, v[108:109]
	v_add_f64 v[10:11], v[154:155], -v[162:163]
	v_fma_f64 v[14:15], v[6:7], -0.5, v[22:23]
	v_fma_f64 v[12:13], v[12:13], -0.5, v[24:25]
	v_add_f64 v[16:17], v[156:157], -v[164:165]
	v_add_f64 v[20:21], v[158:159], -v[18:19]
	v_add_f64 v[108:109], v[154:155], v[162:163]
	v_add_f64 v[114:115], v[146:147], v[150:151]
	v_add_f64 v[138:139], v[146:147], -v[150:151]
	v_fma_f64 v[4:5], v[10:11], s[10:11], v[8:9]
	v_add_f64 v[146:147], v[110:111], v[154:155]
	v_fma_f64 v[6:7], v[10:11], s[16:17], v[8:9]
	v_fma_f64 v[150:151], v[16:17], s[16:17], v[12:13]
	;; [unrolled: 1-line block ×3, first 2 shown]
	v_fma_f64 v[10:11], v[108:109], -0.5, v[110:111]
	v_fma_f64 v[14:15], v[20:21], s[10:11], v[14:15]
	v_fma_f64 v[108:109], v[16:17], s[10:11], v[12:13]
	v_add_f64 v[12:13], v[152:153], -v[160:161]
	v_add_f64 v[8:9], v[146:147], v[162:163]
	v_add_f64 v[22:23], v[22:23], v[156:157]
	v_mul_f64 v[110:111], v[150:151], s[10:11]
	v_mul_f64 v[146:147], v[154:155], -0.5
	v_add_f64 v[24:25], v[24:25], v[158:159]
	v_mul_f64 v[152:153], v[14:15], s[16:17]
	v_mul_f64 v[156:157], v[108:109], -0.5
	v_add_f64 v[2:3], v[2:3], v[160:161]
	v_fma_f64 v[16:17], v[12:13], s[16:17], v[10:11]
	v_fma_f64 v[20:21], v[12:13], s[10:11], v[10:11]
	v_add_f64 v[10:11], v[22:23], v[164:165]
	v_fma_f64 v[12:13], v[14:15], 0.5, v[110:111]
	v_fma_f64 v[14:15], v[108:109], s[10:11], v[146:147]
	v_add_f64 v[18:19], v[24:25], v[18:19]
	v_fma_f64 v[22:23], v[150:151], 0.5, v[152:153]
	v_fma_f64 v[24:25], v[154:155], s[16:17], v[156:157]
	v_add_f64 v[130:131], v[148:149], v[142:143]
	v_add_f64 v[134:135], v[166:167], v[168:169]
	v_add_f64 v[152:153], v[2:3], -v[10:11]
	v_add_f64 v[156:157], v[4:5], -v[12:13]
	;; [unrolled: 1-line block ×8, first 2 shown]
	buffer_store_dword v36, off, s[64:67], 0 offset:12 ; 4-byte Folded Spill
	s_nop 0
	buffer_store_dword v37, off, s[64:67], 0 offset:16 ; 4-byte Folded Spill
	buffer_store_dword v38, off, s[64:67], 0 offset:20 ; 4-byte Folded Spill
	;; [unrolled: 1-line block ×3, first 2 shown]
	s_waitcnt vmcnt(0)
	s_barrier
	ds_write_b128 v73, v[28:31]
	ds_write_b128 v73, v[100:103] offset:816
	ds_write_b128 v73, v[104:107] offset:1632
	;; [unrolled: 1-line block ×5, first 2 shown]
	ds_write_b128 v69, v[112:115]
	ds_write_b128 v69, v[128:131] offset:816
	ds_write_b128 v69, v[132:135] offset:1632
	;; [unrolled: 1-line block ×5, first 2 shown]
	buffer_store_dword v26, off, s[64:67], 0 offset:240 ; 4-byte Folded Spill
	s_and_saveexec_b64 s[10:11], s[2:3]
	s_cbranch_execz .LBB0_11
; %bb.10:
	v_add_f64 v[26:27], v[2:3], v[10:11]
	buffer_load_dword v2, off, s[64:67], 0 offset:240 ; 4-byte Folded Reload
	v_add_f64 v[28:29], v[8:9], v[18:19]
	v_add_f64 v[20:21], v[20:21], v[24:25]
	;; [unrolled: 1-line block ×5, first 2 shown]
	s_waitcnt vmcnt(0)
	ds_write_b128 v2, v[26:29] offset:19584
	ds_write_b128 v2, v[22:25] offset:20400
	;; [unrolled: 1-line block ×5, first 2 shown]
	buffer_load_dword v3, off, s[64:67], 0 offset:12 ; 4-byte Folded Reload
	buffer_load_dword v4, off, s[64:67], 0 offset:16 ; 4-byte Folded Reload
	;; [unrolled: 1-line block ×4, first 2 shown]
	s_waitcnt vmcnt(0)
	ds_write_b128 v2, v[3:6] offset:23664
.LBB0_11:
	s_or_b64 exec, exec, s[10:11]
	s_waitcnt vmcnt(0) lgkmcnt(0)
	s_barrier
	ds_read_b128 v[166:169], v70
	ds_read_b128 v[2:5], v70 offset:4896
	ds_read_b128 v[6:9], v70 offset:9792
	;; [unrolled: 1-line block ×14, first 2 shown]
	buffer_load_dword v18, off, s[64:67], 0 ; 4-byte Folded Reload
	v_mov_b32_e32 v33, s9
	s_movk_i32 s10, 0x1210
	s_movk_i32 s9, 0x1000
	v_lshlrev_b64 v[0:1], 6, v[0:1]
	s_mov_b32 s16, 0x134454ff
	s_mov_b32 s17, 0x3fee6f0e
	;; [unrolled: 1-line block ×5, first 2 shown]
	s_waitcnt vmcnt(0)
	v_lshlrev_b32_e32 v18, 6, v18
	v_add_co_u32_e32 v32, vcc, s8, v18
	v_addc_co_u32_e32 v34, vcc, 0, v33, vcc
	v_add_co_u32_e32 v18, vcc, s10, v32
	v_addc_co_u32_e32 v19, vcc, 0, v34, vcc
	v_add_co_u32_e32 v100, vcc, s9, v32
	v_addc_co_u32_e32 v101, vcc, 0, v34, vcc
	global_load_dwordx4 v[104:107], v[100:101], off offset:528
	s_nop 0
	global_load_dwordx4 v[100:103], v[18:19], off offset:48
	global_load_dwordx4 v[108:111], v[18:19], off offset:32
	;; [unrolled: 1-line block ×3, first 2 shown]
	s_waitcnt vmcnt(3) lgkmcnt(13)
	v_mul_f64 v[18:19], v[4:5], v[106:107]
	v_fma_f64 v[200:201], v[2:3], v[104:105], -v[18:19]
	v_mul_f64 v[2:3], v[2:3], v[106:107]
	v_fma_f64 v[184:185], v[4:5], v[104:105], v[2:3]
	s_waitcnt vmcnt(0) lgkmcnt(12)
	v_mul_f64 v[2:3], v[8:9], v[114:115]
	v_fma_f64 v[190:191], v[6:7], v[112:113], -v[2:3]
	v_mul_f64 v[2:3], v[6:7], v[114:115]
	v_add_f64 v[164:165], v[200:201], -v[190:191]
	v_fma_f64 v[186:187], v[8:9], v[112:113], v[2:3]
	s_waitcnt lgkmcnt(11)
	v_mul_f64 v[2:3], v[12:13], v[110:111]
	v_fma_f64 v[198:199], v[10:11], v[108:109], -v[2:3]
	v_mul_f64 v[2:3], v[10:11], v[110:111]
	v_fma_f64 v[194:195], v[12:13], v[108:109], v[2:3]
	s_waitcnt lgkmcnt(10)
	v_mul_f64 v[2:3], v[16:17], v[102:103]
	v_fma_f64 v[202:203], v[14:15], v[100:101], -v[2:3]
	v_mul_f64 v[2:3], v[14:15], v[102:103]
	v_fma_f64 v[196:197], v[16:17], v[100:101], v[2:3]
	v_add_co_u32_e32 v2, vcc, s8, v0
	v_addc_co_u32_e32 v3, vcc, v33, v1, vcc
	v_add_co_u32_e32 v0, vcc, s10, v2
	v_addc_co_u32_e32 v1, vcc, 0, v3, vcc
	;; [unrolled: 2-line block ×3, first 2 shown]
	global_load_dwordx4 v[128:131], v[2:3], off offset:528
	global_load_dwordx4 v[120:123], v[0:1], off offset:48
	;; [unrolled: 1-line block ×4, first 2 shown]
	s_waitcnt vmcnt(3) lgkmcnt(8)
	v_mul_f64 v[0:1], v[22:23], v[130:131]
	v_fma_f64 v[18:19], v[20:21], v[128:129], -v[0:1]
	v_mul_f64 v[0:1], v[20:21], v[130:131]
	v_fma_f64 v[8:9], v[22:23], v[128:129], v[0:1]
	s_waitcnt vmcnt(0) lgkmcnt(7)
	v_mul_f64 v[0:1], v[26:27], v[134:135]
	v_fma_f64 v[20:21], v[24:25], v[132:133], -v[0:1]
	v_mul_f64 v[0:1], v[24:25], v[134:135]
	v_fma_f64 v[10:11], v[26:27], v[132:133], v[0:1]
	s_waitcnt lgkmcnt(6)
	v_mul_f64 v[0:1], v[30:31], v[126:127]
	v_fma_f64 v[24:25], v[28:29], v[124:125], -v[0:1]
	v_mul_f64 v[0:1], v[28:29], v[126:127]
	v_fma_f64 v[12:13], v[30:31], v[124:125], v[0:1]
	s_waitcnt lgkmcnt(5)
	v_mul_f64 v[0:1], v[138:139], v[122:123]
	v_fma_f64 v[28:29], v[136:137], v[120:121], -v[0:1]
	v_mul_f64 v[0:1], v[136:137], v[122:123]
	v_fma_f64 v[14:15], v[138:139], v[120:121], v[0:1]
	v_lshlrev_b64 v[0:1], 6, v[178:179]
	v_add_co_u32_e32 v2, vcc, s8, v0
	v_addc_co_u32_e32 v3, vcc, v33, v1, vcc
	v_add_co_u32_e32 v0, vcc, s10, v2
	v_addc_co_u32_e32 v1, vcc, 0, v3, vcc
	v_add_co_u32_e32 v2, vcc, s9, v2
	v_addc_co_u32_e32 v3, vcc, 0, v3, vcc
	global_load_dwordx4 v[144:147], v[2:3], off offset:528
	global_load_dwordx4 v[136:139], v[0:1], off offset:48
	;; [unrolled: 1-line block ×4, first 2 shown]
	s_mov_b32 s10, 0x4755a5e
	s_mov_b32 s11, 0x3fe2cf23
	;; [unrolled: 1-line block ×5, first 2 shown]
	s_waitcnt vmcnt(3) lgkmcnt(3)
	v_mul_f64 v[0:1], v[176:177], v[146:147]
	s_waitcnt vmcnt(2) lgkmcnt(0)
	v_mul_f64 v[6:7], v[118:119], v[138:139]
	s_waitcnt vmcnt(1)
	v_mul_f64 v[4:5], v[162:163], v[142:143]
	s_waitcnt vmcnt(0)
	v_mul_f64 v[2:3], v[172:173], v[150:151]
	v_fma_f64 v[16:17], v[174:175], v[144:145], -v[0:1]
	v_fma_f64 v[30:31], v[116:117], v[136:137], -v[6:7]
	v_mul_f64 v[6:7], v[116:117], v[138:139]
	v_add_f64 v[116:117], v[166:167], v[200:201]
	v_fma_f64 v[26:27], v[160:161], v[140:141], -v[4:5]
	v_mul_f64 v[4:5], v[160:161], v[142:143]
	v_fma_f64 v[22:23], v[170:171], v[148:149], -v[2:3]
	v_mul_f64 v[2:3], v[170:171], v[150:151]
	v_add_f64 v[170:171], v[186:187], -v[194:195]
	v_mul_f64 v[0:1], v[174:175], v[146:147]
	v_fma_f64 v[6:7], v[118:119], v[136:137], v[6:7]
	v_add_f64 v[116:117], v[116:117], v[190:191]
	v_add_f64 v[118:119], v[184:185], -v[196:197]
	v_fma_f64 v[4:5], v[162:163], v[140:141], v[4:5]
	v_add_f64 v[174:175], v[196:197], -v[194:195]
	v_fma_f64 v[2:3], v[172:173], v[148:149], v[2:3]
	;; [unrolled: 2-line block ×3, first 2 shown]
	v_add_f64 v[116:117], v[116:117], v[198:199]
	v_add_f64 v[164:165], v[164:165], v[172:173]
	v_add_f64 v[172:173], v[198:199], -v[202:203]
	v_add_f64 v[160:161], v[116:117], v[202:203]
	v_add_f64 v[116:117], v[190:191], v[198:199]
	v_fma_f64 v[116:117], v[116:117], -0.5, v[166:167]
	v_fma_f64 v[162:163], v[118:119], s[16:17], v[116:117]
	v_fma_f64 v[116:117], v[118:119], s[18:19], v[116:117]
	;; [unrolled: 1-line block ×6, first 2 shown]
	v_add_f64 v[116:117], v[200:201], v[202:203]
	v_fma_f64 v[116:117], v[116:117], -0.5, v[166:167]
	v_add_f64 v[166:167], v[190:191], -v[200:201]
	v_fma_f64 v[162:163], v[170:171], s[18:19], v[116:117]
	v_fma_f64 v[116:117], v[170:171], s[16:17], v[116:117]
	v_add_f64 v[166:167], v[166:167], v[172:173]
	v_add_f64 v[170:171], v[190:191], -v[198:199]
	v_add_f64 v[172:173], v[184:185], -v[186:187]
	v_fma_f64 v[162:163], v[118:119], s[10:11], v[162:163]
	v_fma_f64 v[116:117], v[118:119], s[20:21], v[116:117]
	v_add_f64 v[118:119], v[200:201], -v[202:203]
	v_add_f64 v[172:173], v[172:173], v[174:175]
	v_add_f64 v[174:175], v[194:195], -v[196:197]
	v_fma_f64 v[192:193], v[166:167], s[8:9], v[162:163]
	v_fma_f64 v[176:177], v[166:167], s[8:9], v[116:117]
	v_add_f64 v[116:117], v[168:169], v[184:185]
	v_add_f64 v[116:117], v[116:117], v[186:187]
	;; [unrolled: 1-line block ×5, first 2 shown]
	v_fma_f64 v[116:117], v[116:117], -0.5, v[168:169]
	v_fma_f64 v[166:167], v[118:119], s[18:19], v[116:117]
	v_fma_f64 v[116:117], v[118:119], s[16:17], v[116:117]
	;; [unrolled: 1-line block ×6, first 2 shown]
	v_add_f64 v[116:117], v[184:185], v[196:197]
	v_add_f64 v[172:173], v[186:187], -v[184:185]
	v_add_f64 v[184:185], v[24:25], -v[28:29]
	v_fma_f64 v[116:117], v[116:117], -0.5, v[168:169]
	v_add_f64 v[172:173], v[172:173], v[174:175]
	v_add_f64 v[174:175], v[28:29], -v[24:25]
	v_fma_f64 v[168:169], v[170:171], s[16:17], v[116:117]
	v_fma_f64 v[116:117], v[170:171], s[18:19], v[116:117]
	v_add_f64 v[170:171], v[10:11], -v[12:13]
	v_fma_f64 v[168:169], v[118:119], s[20:21], v[168:169]
	v_fma_f64 v[116:117], v[118:119], s[10:11], v[116:117]
	;; [unrolled: 3-line block ×3, first 2 shown]
	v_add_f64 v[116:117], v[180:181], v[18:19]
	v_add_f64 v[172:173], v[18:19], -v[20:21]
	v_add_f64 v[116:117], v[116:117], v[20:21]
	v_add_f64 v[172:173], v[172:173], v[174:175]
	;; [unrolled: 1-line block ×5, first 2 shown]
	v_fma_f64 v[116:117], v[116:117], -0.5, v[180:181]
	v_fma_f64 v[168:169], v[118:119], s[16:17], v[116:117]
	v_fma_f64 v[116:117], v[118:119], s[18:19], v[116:117]
	;; [unrolled: 1-line block ×6, first 2 shown]
	v_add_f64 v[116:117], v[18:19], v[28:29]
	v_fma_f64 v[116:117], v[116:117], -0.5, v[180:181]
	v_add_f64 v[180:181], v[20:21], -v[18:19]
	v_add_f64 v[18:19], v[18:19], -v[28:29]
	;; [unrolled: 1-line block ×3, first 2 shown]
	v_fma_f64 v[174:175], v[170:171], s[18:19], v[116:117]
	v_fma_f64 v[116:117], v[170:171], s[16:17], v[116:117]
	v_add_f64 v[184:185], v[180:181], v[184:185]
	v_fma_f64 v[174:175], v[118:119], s[10:11], v[174:175]
	v_fma_f64 v[116:117], v[118:119], s[20:21], v[116:117]
	v_add_f64 v[118:119], v[14:15], -v[12:13]
	v_fma_f64 v[180:181], v[184:185], s[8:9], v[174:175]
	v_fma_f64 v[184:185], v[184:185], s[8:9], v[116:117]
	v_add_f64 v[116:117], v[182:183], v[8:9]
	v_add_f64 v[116:117], v[116:117], v[10:11]
	;; [unrolled: 1-line block ×5, first 2 shown]
	v_fma_f64 v[116:117], v[116:117], -0.5, v[182:183]
	v_fma_f64 v[28:29], v[18:19], s[18:19], v[116:117]
	v_fma_f64 v[24:25], v[20:21], s[20:21], v[28:29]
	v_add_f64 v[28:29], v[8:9], -v[10:11]
	v_add_f64 v[28:29], v[28:29], v[118:119]
	v_fma_f64 v[170:171], v[28:29], s[8:9], v[24:25]
	v_fma_f64 v[24:25], v[18:19], s[16:17], v[116:117]
	;; [unrolled: 1-line block ×4, first 2 shown]
	v_add_f64 v[24:25], v[8:9], v[14:15]
	v_add_f64 v[8:9], v[10:11], -v[8:9]
	v_add_f64 v[10:11], v[12:13], -v[14:15]
	;; [unrolled: 1-line block ×3, first 2 shown]
	v_fma_f64 v[24:25], v[24:25], -0.5, v[182:183]
	v_add_f64 v[8:9], v[8:9], v[10:11]
	v_fma_f64 v[28:29], v[20:21], s[16:17], v[24:25]
	v_fma_f64 v[10:11], v[20:21], s[18:19], v[24:25]
	v_add_f64 v[20:21], v[30:31], -v[26:27]
	v_fma_f64 v[28:29], v[18:19], s[20:21], v[28:29]
	v_fma_f64 v[10:11], v[18:19], s[10:11], v[10:11]
	v_add_f64 v[18:19], v[16:17], -v[22:23]
	v_fma_f64 v[182:183], v[8:9], s[8:9], v[28:29]
	v_fma_f64 v[186:187], v[8:9], s[8:9], v[10:11]
	v_add_f64 v[8:9], v[212:213], v[16:17]
	v_add_f64 v[10:11], v[0:1], -v[6:7]
	v_add_f64 v[18:19], v[18:19], v[20:21]
	v_add_f64 v[20:21], v[26:27], -v[30:31]
	v_add_f64 v[8:9], v[8:9], v[22:23]
	v_add_f64 v[8:9], v[8:9], v[26:27]
	;; [unrolled: 1-line block ×4, first 2 shown]
	v_fma_f64 v[8:9], v[8:9], -0.5, v[212:213]
	v_fma_f64 v[12:13], v[10:11], s[16:17], v[8:9]
	v_fma_f64 v[8:9], v[10:11], s[18:19], v[8:9]
	;; [unrolled: 1-line block ×6, first 2 shown]
	v_add_f64 v[8:9], v[16:17], v[30:31]
	v_add_f64 v[18:19], v[22:23], -v[16:17]
	v_fma_f64 v[8:9], v[8:9], -0.5, v[212:213]
	v_add_f64 v[18:19], v[18:19], v[20:21]
	v_fma_f64 v[12:13], v[14:15], s[18:19], v[8:9]
	v_fma_f64 v[8:9], v[14:15], s[16:17], v[8:9]
	v_add_f64 v[14:15], v[22:23], -v[26:27]
	v_fma_f64 v[12:13], v[10:11], s[10:11], v[12:13]
	v_fma_f64 v[8:9], v[10:11], s[20:21], v[8:9]
	v_add_f64 v[10:11], v[16:17], -v[30:31]
	v_add_f64 v[16:17], v[0:1], -v[2:3]
	v_fma_f64 v[212:213], v[18:19], s[8:9], v[12:13]
	v_fma_f64 v[216:217], v[18:19], s[8:9], v[8:9]
	v_add_f64 v[8:9], v[214:215], v[0:1]
	v_add_f64 v[18:19], v[6:7], -v[4:5]
	v_add_f64 v[8:9], v[8:9], v[2:3]
	v_add_f64 v[16:17], v[16:17], v[18:19]
	;; [unrolled: 1-line block ×5, first 2 shown]
	v_fma_f64 v[8:9], v[8:9], -0.5, v[214:215]
	v_fma_f64 v[12:13], v[10:11], s[18:19], v[8:9]
	v_fma_f64 v[8:9], v[10:11], s[16:17], v[8:9]
	v_fma_f64 v[12:13], v[14:15], s[20:21], v[12:13]
	v_fma_f64 v[8:9], v[14:15], s[10:11], v[8:9]
	v_fma_f64 v[206:207], v[16:17], s[8:9], v[12:13]
	v_fma_f64 v[210:211], v[16:17], s[8:9], v[8:9]
	v_add_f64 v[8:9], v[0:1], v[6:7]
	v_add_f64 v[0:1], v[2:3], -v[0:1]
	v_add_f64 v[2:3], v[4:5], -v[6:7]
	v_fma_f64 v[8:9], v[8:9], -0.5, v[214:215]
	v_add_f64 v[0:1], v[0:1], v[2:3]
	v_fma_f64 v[12:13], v[14:15], s[16:17], v[8:9]
	v_fma_f64 v[2:3], v[14:15], s[18:19], v[8:9]
	;; [unrolled: 1-line block ×6, first 2 shown]
	ds_write_b128 v70, v[160:163]
	ds_write_b128 v70, v[188:191] offset:4896
	ds_write_b128 v70, v[192:195] offset:9792
	;; [unrolled: 1-line block ×14, first 2 shown]
	s_waitcnt lgkmcnt(0)
	s_barrier
	s_and_saveexec_b64 s[8:9], s[0:1]
	s_cbranch_execz .LBB0_13
; %bb.12:
	v_add_co_u32_e32 v0, vcc, s12, v68
	v_mov_b32_e32 v1, s13
	v_addc_co_u32_e32 v1, vcc, 0, v1, vcc
	v_add_co_u32_e32 v14, vcc, 0x5fa0, v0
	v_addc_co_u32_e32 v15, vcc, 0, v1, vcc
	v_add_co_u32_e32 v6, vcc, 0x5000, v0
	v_addc_co_u32_e32 v7, vcc, 0, v1, vcc
	global_load_dwordx4 v[6:9], v[6:7], off offset:4000
	ds_read_b128 v[2:5], v70
	s_movk_i32 s10, 0x7000
	s_waitcnt vmcnt(0) lgkmcnt(0)
	v_mul_f64 v[10:11], v[4:5], v[8:9]
	v_fma_f64 v[10:11], v[2:3], v[6:7], -v[10:11]
	v_mul_f64 v[2:3], v[2:3], v[8:9]
	v_fma_f64 v[12:13], v[4:5], v[6:7], v[2:3]
	global_load_dwordx4 v[6:9], v[14:15], off offset:1440
	ds_write_b128 v70, v[10:13]
	ds_read_b128 v[2:5], v68 offset:1440
	s_waitcnt vmcnt(0) lgkmcnt(0)
	v_mul_f64 v[10:11], v[4:5], v[8:9]
	v_fma_f64 v[10:11], v[2:3], v[6:7], -v[10:11]
	v_mul_f64 v[2:3], v[2:3], v[8:9]
	v_fma_f64 v[12:13], v[4:5], v[6:7], v[2:3]
	global_load_dwordx4 v[6:9], v[14:15], off offset:2880
	ds_read_b128 v[2:5], v68 offset:2880
	v_add_co_u32_e32 v14, vcc, s10, v0
	v_addc_co_u32_e32 v15, vcc, 0, v1, vcc
	s_mov_b32 s10, 0x8000
	ds_write_b128 v68, v[10:13] offset:1440
	s_waitcnt vmcnt(0) lgkmcnt(1)
	v_mul_f64 v[10:11], v[4:5], v[8:9]
	v_fma_f64 v[10:11], v[2:3], v[6:7], -v[10:11]
	v_mul_f64 v[2:3], v[2:3], v[8:9]
	v_fma_f64 v[12:13], v[4:5], v[6:7], v[2:3]
	global_load_dwordx4 v[6:9], v[14:15], off offset:128
	ds_read_b128 v[2:5], v68 offset:4320
	ds_write_b128 v68, v[10:13] offset:2880
	s_waitcnt vmcnt(0) lgkmcnt(1)
	v_mul_f64 v[10:11], v[4:5], v[8:9]
	v_fma_f64 v[10:11], v[2:3], v[6:7], -v[10:11]
	v_mul_f64 v[2:3], v[2:3], v[8:9]
	v_fma_f64 v[12:13], v[4:5], v[6:7], v[2:3]
	global_load_dwordx4 v[6:9], v[14:15], off offset:1568
	ds_read_b128 v[2:5], v68 offset:5760
	ds_write_b128 v68, v[10:13] offset:4320
	s_waitcnt vmcnt(0) lgkmcnt(1)
	v_mul_f64 v[10:11], v[4:5], v[8:9]
	v_fma_f64 v[10:11], v[2:3], v[6:7], -v[10:11]
	v_mul_f64 v[2:3], v[2:3], v[8:9]
	v_fma_f64 v[12:13], v[4:5], v[6:7], v[2:3]
	global_load_dwordx4 v[6:9], v[14:15], off offset:3008
	ds_read_b128 v[2:5], v68 offset:7200
	v_add_co_u32_e32 v14, vcc, s10, v0
	v_addc_co_u32_e32 v15, vcc, 0, v1, vcc
	s_mov_b32 s10, 0x9000
	ds_write_b128 v68, v[10:13] offset:5760
	s_waitcnt vmcnt(0) lgkmcnt(1)
	v_mul_f64 v[10:11], v[4:5], v[8:9]
	v_fma_f64 v[10:11], v[2:3], v[6:7], -v[10:11]
	v_mul_f64 v[2:3], v[2:3], v[8:9]
	v_fma_f64 v[12:13], v[4:5], v[6:7], v[2:3]
	global_load_dwordx4 v[6:9], v[14:15], off offset:352
	ds_read_b128 v[2:5], v68 offset:8640
	ds_write_b128 v68, v[10:13] offset:7200
	s_waitcnt vmcnt(0) lgkmcnt(1)
	v_mul_f64 v[10:11], v[4:5], v[8:9]
	v_fma_f64 v[10:11], v[2:3], v[6:7], -v[10:11]
	v_mul_f64 v[2:3], v[2:3], v[8:9]
	v_fma_f64 v[12:13], v[4:5], v[6:7], v[2:3]
	global_load_dwordx4 v[6:9], v[14:15], off offset:1792
	ds_read_b128 v[2:5], v68 offset:10080
	ds_write_b128 v68, v[10:13] offset:8640
	;; [unrolled: 27-line block ×4, first 2 shown]
	s_waitcnt vmcnt(0) lgkmcnt(1)
	v_mul_f64 v[10:11], v[4:5], v[8:9]
	v_fma_f64 v[10:11], v[2:3], v[6:7], -v[10:11]
	v_mul_f64 v[2:3], v[2:3], v[8:9]
	v_fma_f64 v[12:13], v[4:5], v[6:7], v[2:3]
	global_load_dwordx4 v[6:9], v[14:15], off offset:3680
	ds_read_b128 v[2:5], v68 offset:20160
	ds_write_b128 v68, v[10:13] offset:18720
	s_waitcnt vmcnt(0) lgkmcnt(1)
	v_mul_f64 v[10:11], v[4:5], v[8:9]
	v_fma_f64 v[10:11], v[2:3], v[6:7], -v[10:11]
	v_mul_f64 v[2:3], v[2:3], v[8:9]
	v_fma_f64 v[12:13], v[4:5], v[6:7], v[2:3]
	ds_read_b128 v[2:5], v68 offset:21600
	ds_write_b128 v68, v[10:13] offset:20160
	v_add_co_u32_e32 v10, vcc, s10, v0
	v_addc_co_u32_e32 v11, vcc, 0, v1, vcc
	global_load_dwordx4 v[6:9], v[10:11], off offset:1024
	s_waitcnt vmcnt(0) lgkmcnt(1)
	v_mul_f64 v[0:1], v[4:5], v[8:9]
	v_fma_f64 v[0:1], v[2:3], v[6:7], -v[0:1]
	v_mul_f64 v[2:3], v[2:3], v[8:9]
	v_fma_f64 v[2:3], v[4:5], v[6:7], v[2:3]
	global_load_dwordx4 v[4:7], v[10:11], off offset:2464
	ds_write_b128 v68, v[0:3] offset:21600
	ds_read_b128 v[0:3], v68 offset:23040
	s_waitcnt vmcnt(0) lgkmcnt(0)
	v_mul_f64 v[8:9], v[2:3], v[6:7]
	v_fma_f64 v[8:9], v[0:1], v[4:5], -v[8:9]
	v_mul_f64 v[0:1], v[0:1], v[6:7]
	v_fma_f64 v[10:11], v[2:3], v[4:5], v[0:1]
	ds_write_b128 v68, v[8:11] offset:23040
.LBB0_13:
	s_or_b64 exec, exec, s[8:9]
	s_waitcnt lgkmcnt(0)
	s_barrier
	s_and_saveexec_b64 s[8:9], s[0:1]
	s_cbranch_execz .LBB0_15
; %bb.14:
	ds_read_b128 v[160:163], v70
	ds_read_b128 v[188:191], v70 offset:1440
	ds_read_b128 v[192:195], v70 offset:2880
	;; [unrolled: 1-line block ×16, first 2 shown]
.LBB0_15:
	s_or_b64 exec, exec, s[8:9]
	s_waitcnt lgkmcnt(0)
	v_add_f64 v[0:1], v[190:191], -v[158:159]
	s_mov_b32 s20, 0x5d8e7cdc
	s_mov_b32 s21, 0xbfd71e95
	v_add_f64 v[232:233], v[188:189], v[156:157]
	v_add_f64 v[238:239], v[190:191], v[158:159]
	s_mov_b32 s8, 0x370991
	s_mov_b32 s9, 0x3fedd6d0
	v_add_f64 v[234:235], v[188:189], -v[156:157]
	v_mul_f64 v[34:35], v[0:1], s[20:21]
	s_mov_b32 s18, 0x2a9d6da3
	s_mov_b32 s19, 0xbfe58eea
	v_mul_f64 v[38:39], v[0:1], s[18:19]
	v_mul_f64 v[36:37], v[238:239], s[8:9]
	s_mov_b32 s10, 0x75d4884
	s_mov_b32 s11, 0x3fe7a5f6
	v_mul_f64 v[50:51], v[238:239], s[10:11]
	v_fma_f64 v[2:3], v[232:233], s[8:9], -v[34:35]
	v_add_f64 v[230:231], v[178:179], v[210:211]
	s_mov_b32 s28, 0x6ed5f1bb
	s_mov_b32 s29, 0xbfe348c8
	v_add_f64 v[236:237], v[192:193], v[152:153]
	v_add_f64 v[246:247], v[194:195], v[154:155]
	v_add_f64 v[242:243], v[192:193], -v[152:153]
	s_mov_b32 s24, 0xeb564b22
	v_add_f64 v[4:5], v[160:161], v[2:3]
	v_fma_f64 v[2:3], v[234:235], s[20:21], v[36:37]
	v_mul_f64 v[16:17], v[230:231], s[28:29]
	buffer_store_dword v16, off, s[64:67], 0 offset:452 ; 4-byte Folded Spill
	s_nop 0
	buffer_store_dword v17, off, s[64:67], 0 offset:456 ; 4-byte Folded Spill
	v_add_f64 v[6:7], v[162:163], v[2:3]
	v_fma_f64 v[2:3], v[232:233], s[10:11], -v[38:39]
	v_mul_f64 v[42:43], v[246:247], s[10:11]
	s_mov_b32 s25, 0xbfefdd0d
	s_mov_b32 s16, 0x3259b75e
	;; [unrolled: 1-line block ×3, first 2 shown]
	v_mul_f64 v[64:65], v[246:247], s[16:17]
	s_mov_b32 s30, 0x7c9e640b
	s_mov_b32 s31, 0xbfeca52d
	v_add_f64 v[8:9], v[160:161], v[2:3]
	v_fma_f64 v[2:3], v[234:235], s[18:19], v[50:51]
	v_add_f64 v[240:241], v[176:177], v[208:209]
	s_mov_b32 s22, 0x2b2883cd
	s_mov_b32 s23, 0x3fdc86fa
	v_add_f64 v[244:245], v[176:177], -v[208:209]
	v_mul_f64 v[48:49], v[230:231], s[22:23]
	s_mov_b32 s26, 0x6c9a05f6
	s_mov_b32 s27, 0xbfe9895b
	v_add_f64 v[10:11], v[162:163], v[2:3]
	v_add_f64 v[2:3], v[194:195], -v[154:155]
	s_mov_b32 s34, 0x7faef3
	s_mov_b32 s35, 0xbfef7484
	v_add_f64 v[26:27], v[166:167], -v[218:219]
	v_add_f64 v[228:229], v[164:165], v[216:217]
	v_add_f64 v[250:251], v[164:165], -v[216:217]
	s_mov_b32 s51, 0xbfc7851a
	s_mov_b32 s50, 0xacd6c6b4
	v_mul_f64 v[40:41], v[2:3], s[18:19]
	v_mul_f64 v[44:45], v[2:3], s[24:25]
	s_mov_b32 s42, 0x923c349f
	v_mul_f64 v[62:63], v[26:27], s[24:25]
	v_mul_f64 v[71:72], v[26:27], s[50:51]
	s_mov_b32 s43, 0xbfeec746
	v_add_f64 v[248:249], v[196:197], v[212:213]
	s_mov_b32 s44, 0x4363dd80
	v_fma_f64 v[12:13], v[236:237], s[10:11], -v[40:41]
	s_mov_b32 s45, 0x3fe0d888
	s_mov_b32 s36, 0x910ea3b9
	;; [unrolled: 1-line block ×3, first 2 shown]
	v_add_f64 v[28:29], v[170:171], -v[206:207]
	v_add_f64 v[254:255], v[170:171], v[206:207]
	s_mov_b32 s47, 0x3feec746
	s_mov_b32 s46, s42
	v_add_f64 v[4:5], v[12:13], v[4:5]
	v_fma_f64 v[12:13], v[242:243], s[18:19], v[42:43]
	s_mov_b32 s49, 0xbfe0d888
	s_mov_b32 s48, s44
	v_mul_f64 v[30:31], v[28:29], s[26:27]
	v_mul_f64 v[32:33], v[254:255], s[28:29]
	v_add_f64 v[252:253], v[182:183], v[202:203]
	v_add_f64 v[116:117], v[180:181], -v[200:201]
	s_mov_b32 s52, s30
	v_add_f64 v[6:7], v[12:13], v[6:7]
	v_fma_f64 v[12:13], v[236:237], s[16:17], -v[44:45]
	s_mov_b32 s55, 0x3fd71e95
	s_mov_b32 s54, s20
	v_mul_f64 v[222:223], v[252:253], s[36:37]
	v_add_f64 v[8:9], v[12:13], v[8:9]
	v_fma_f64 v[12:13], v[242:243], s[24:25], v[64:65]
	v_add_f64 v[12:13], v[12:13], v[10:11]
	v_add_f64 v[10:11], v[178:179], -v[210:211]
	v_mul_f64 v[46:47], v[10:11], s[30:31]
	v_mul_f64 v[60:61], v[10:11], s[26:27]
	v_fma_f64 v[14:15], v[240:241], s[22:23], -v[46:47]
	v_add_f64 v[14:15], v[14:15], v[4:5]
	v_fma_f64 v[4:5], v[244:245], s[30:31], v[48:49]
	v_add_f64 v[6:7], v[4:5], v[6:7]
	v_fma_f64 v[4:5], v[240:241], s[28:29], -v[60:61]
	v_add_f64 v[8:9], v[4:5], v[8:9]
	v_fma_f64 v[4:5], v[244:245], s[26:27], v[16:17]
	v_fma_f64 v[16:17], v[228:229], s[16:17], -v[62:63]
	v_add_f64 v[12:13], v[4:5], v[12:13]
	v_add_f64 v[4:5], v[166:167], v[218:219]
	;; [unrolled: 1-line block ×3, first 2 shown]
	v_mul_f64 v[18:19], v[4:5], s[34:35]
	buffer_store_dword v18, off, s[64:67], 0 offset:364 ; 4-byte Folded Spill
	s_nop 0
	buffer_store_dword v19, off, s[64:67], 0 offset:368 ; 4-byte Folded Spill
	v_mul_f64 v[66:67], v[4:5], s[16:17]
	v_fma_f64 v[16:17], v[250:251], s[24:25], v[66:67]
	v_add_f64 v[6:7], v[16:17], v[6:7]
	v_fma_f64 v[16:17], v[228:229], s[34:35], -v[71:72]
	v_add_f64 v[16:17], v[16:17], v[8:9]
	v_fma_f64 v[8:9], v[250:251], s[50:51], v[18:19]
	v_add_f64 v[18:19], v[198:199], -v[214:215]
	v_add_f64 v[20:21], v[8:9], v[12:13]
	v_add_f64 v[12:13], v[198:199], v[214:215]
	v_mul_f64 v[22:23], v[18:19], s[42:43]
	buffer_store_dword v22, off, s[64:67], 0 offset:340 ; 4-byte Folded Spill
	s_nop 0
	buffer_store_dword v23, off, s[64:67], 0 offset:344 ; 4-byte Folded Spill
	v_mul_f64 v[24:25], v[12:13], s[38:39]
	buffer_store_dword v24, off, s[64:67], 0 offset:348 ; 4-byte Folded Spill
	s_nop 0
	buffer_store_dword v25, off, s[64:67], 0 offset:352 ; 4-byte Folded Spill
	v_add_f64 v[8:9], v[196:197], -v[212:213]
	v_fma_f64 v[22:23], v[248:249], s[38:39], -v[22:23]
	v_add_f64 v[22:23], v[22:23], v[14:15]
	v_fma_f64 v[14:15], v[8:9], s[42:43], v[24:25]
	v_add_f64 v[24:25], v[14:15], v[6:7]
	v_mul_f64 v[6:7], v[18:19], s[44:45]
	v_mul_f64 v[14:15], v[12:13], s[36:37]
	buffer_store_dword v6, off, s[64:67], 0 offset:356 ; 4-byte Folded Spill
	s_nop 0
	buffer_store_dword v7, off, s[64:67], 0 offset:360 ; 4-byte Folded Spill
	buffer_store_dword v14, off, s[64:67], 0 offset:396 ; 4-byte Folded Spill
	s_nop 0
	buffer_store_dword v15, off, s[64:67], 0 offset:400 ; 4-byte Folded Spill
	;; [unrolled: 3-line block ×4, first 2 shown]
	v_fma_f64 v[6:7], v[248:249], s[36:37], -v[6:7]
	v_add_f64 v[16:17], v[6:7], v[16:17]
	v_fma_f64 v[6:7], v[8:9], s[44:45], v[14:15]
	v_add_f64 v[14:15], v[168:169], -v[204:205]
	v_add_f64 v[20:21], v[6:7], v[20:21]
	v_add_f64 v[6:7], v[168:169], v[204:205]
	v_fma_f64 v[30:31], v[6:7], s[28:29], -v[30:31]
	v_add_f64 v[22:23], v[30:31], v[22:23]
	v_fma_f64 v[30:31], v[14:15], s[26:27], v[32:33]
	v_add_f64 v[118:119], v[30:31], v[24:25]
	v_mul_f64 v[24:25], v[28:29], s[46:47]
	v_mul_f64 v[30:31], v[254:255], s[38:39]
	buffer_store_dword v24, off, s[64:67], 0 offset:388 ; 4-byte Folded Spill
	s_nop 0
	buffer_store_dword v25, off, s[64:67], 0 offset:392 ; 4-byte Folded Spill
	buffer_store_dword v30, off, s[64:67], 0 offset:428 ; 4-byte Folded Spill
	s_nop 0
	buffer_store_dword v31, off, s[64:67], 0 offset:432 ; 4-byte Folded Spill
	v_fma_f64 v[24:25], v[6:7], s[38:39], -v[24:25]
	v_add_f64 v[16:17], v[24:25], v[16:17]
	v_fma_f64 v[24:25], v[14:15], s[46:47], v[30:31]
	v_add_f64 v[30:31], v[182:183], -v[202:203]
	v_add_f64 v[20:21], v[24:25], v[20:21]
	v_mul_f64 v[32:33], v[30:31], s[48:49]
	buffer_store_dword v32, off, s[64:67], 0 offset:404 ; 4-byte Folded Spill
	s_nop 0
	buffer_store_dword v33, off, s[64:67], 0 offset:408 ; 4-byte Folded Spill
	buffer_store_dword v222, off, s[64:67], 0 offset:412 ; 4-byte Folded Spill
	s_nop 0
	buffer_store_dword v223, off, s[64:67], 0 offset:416 ; 4-byte Folded Spill
	v_add_f64 v[24:25], v[180:181], v[200:201]
	v_fma_f64 v[220:221], v[24:25], s[36:37], -v[32:33]
	v_mul_f64 v[32:33], v[252:253], s[22:23]
	v_add_f64 v[220:221], v[220:221], v[22:23]
	v_fma_f64 v[22:23], v[116:117], s[48:49], v[222:223]
	v_add_f64 v[222:223], v[22:23], v[118:119]
	v_mul_f64 v[22:23], v[30:31], s[52:53]
	buffer_store_dword v22, off, s[64:67], 0 offset:420 ; 4-byte Folded Spill
	s_nop 0
	buffer_store_dword v23, off, s[64:67], 0 offset:424 ; 4-byte Folded Spill
	buffer_store_dword v32, off, s[64:67], 0 offset:460 ; 4-byte Folded Spill
	s_nop 0
	buffer_store_dword v33, off, s[64:67], 0 offset:464 ; 4-byte Folded Spill
	v_add_f64 v[118:119], v[184:185], v[172:173]
	v_fma_f64 v[22:23], v[24:25], s[22:23], -v[22:23]
	v_add_f64 v[224:225], v[22:23], v[16:17]
	v_fma_f64 v[16:17], v[116:117], s[52:53], v[32:33]
	v_add_f64 v[22:23], v[186:187], -v[174:175]
	v_add_f64 v[226:227], v[16:17], v[20:21]
	v_add_f64 v[16:17], v[186:187], v[174:175]
	v_mul_f64 v[32:33], v[22:23], s[50:51]
	buffer_store_dword v32, off, s[64:67], 0 offset:436 ; 4-byte Folded Spill
	s_nop 0
	buffer_store_dword v33, off, s[64:67], 0 offset:440 ; 4-byte Folded Spill
	v_mul_f64 v[74:75], v[16:17], s[34:35]
	buffer_store_dword v74, off, s[64:67], 0 offset:444 ; 4-byte Folded Spill
	s_nop 0
	buffer_store_dword v75, off, s[64:67], 0 offset:448 ; 4-byte Folded Spill
	v_add_f64 v[20:21], v[184:185], -v[172:173]
	v_fma_f64 v[32:33], v[118:119], s[34:35], -v[32:33]
	v_add_f64 v[220:221], v[32:33], v[220:221]
	v_fma_f64 v[32:33], v[20:21], s[50:51], v[74:75]
	v_mul_f64 v[74:75], v[16:17], s[8:9]
	v_add_f64 v[222:223], v[32:33], v[222:223]
	v_mul_f64 v[32:33], v[22:23], s[54:55]
	buffer_store_dword v32, off, s[64:67], 0 offset:476 ; 4-byte Folded Spill
	s_nop 0
	buffer_store_dword v33, off, s[64:67], 0 offset:480 ; 4-byte Folded Spill
	buffer_store_dword v74, off, s[64:67], 0 offset:468 ; 4-byte Folded Spill
	s_nop 0
	buffer_store_dword v75, off, s[64:67], 0 offset:472 ; 4-byte Folded Spill
	s_waitcnt vmcnt(0)
	s_barrier
	v_fma_f64 v[32:33], v[118:119], s[8:9], -v[32:33]
	v_add_f64 v[224:225], v[32:33], v[224:225]
	v_fma_f64 v[32:33], v[20:21], s[54:55], v[74:75]
	v_add_f64 v[226:227], v[32:33], v[226:227]
	s_and_saveexec_b64 s[40:41], s[0:1]
	s_cbranch_execz .LBB0_17
; %bb.16:
	buffer_store_dword v34, off, s[64:67], 0 offset:540 ; 4-byte Folded Spill
	s_nop 0
	buffer_store_dword v35, off, s[64:67], 0 offset:544 ; 4-byte Folded Spill
	v_mul_f64 v[32:33], v[234:235], s[50:51]
	v_mul_f64 v[34:35], v[0:1], s[50:51]
	buffer_store_dword v36, off, s[64:67], 0 offset:572 ; 4-byte Folded Spill
	s_nop 0
	buffer_store_dword v37, off, s[64:67], 0 offset:576 ; 4-byte Folded Spill
	buffer_store_dword v38, off, s[64:67], 0 offset:548 ; 4-byte Folded Spill
	s_nop 0
	buffer_store_dword v39, off, s[64:67], 0 offset:552 ; 4-byte Folded Spill
	;; [unrolled: 3-line block ×7, first 2 shown]
	v_mul_f64 v[40:41], v[242:243], s[54:55]
	v_fma_f64 v[44:45], v[238:239], s[34:35], v[32:33]
	v_mul_f64 v[46:47], v[2:3], s[54:55]
	v_fma_f64 v[48:49], v[232:233], s[34:35], -v[34:35]
	buffer_store_dword v50, off, s[64:67], 0 offset:612 ; 4-byte Folded Spill
	s_nop 0
	buffer_store_dword v51, off, s[64:67], 0 offset:616 ; 4-byte Folded Spill
	buffer_store_dword v52, off, s[64:67], 0 offset:484 ; 4-byte Folded Spill
	s_nop 0
	buffer_store_dword v53, off, s[64:67], 0 offset:488 ; 4-byte Folded Spill
	buffer_store_dword v54, off, s[64:67], 0 offset:492 ; 4-byte Folded Spill
	;; [unrolled: 1-line block ×4, first 2 shown]
	s_nop 0
	buffer_store_dword v57, off, s[64:67], 0 offset:504 ; 4-byte Folded Spill
	buffer_store_dword v58, off, s[64:67], 0 offset:508 ; 4-byte Folded Spill
	;; [unrolled: 1-line block ×3, first 2 shown]
	v_mul_f64 v[50:51], v[244:245], s[48:49]
	v_fma_f64 v[52:53], v[246:247], s[8:9], v[40:41]
	v_fma_f64 v[32:33], v[238:239], s[34:35], -v[32:33]
	v_add_f64 v[44:45], v[162:163], v[44:45]
	v_mul_f64 v[54:55], v[10:11], s[48:49]
	v_fma_f64 v[56:57], v[236:237], s[8:9], -v[46:47]
	v_add_f64 v[48:49], v[160:161], v[48:49]
	s_mov_b32 s57, 0x3fe58eea
	s_mov_b32 s56, s18
	buffer_store_dword v64, off, s[64:67], 0 offset:620 ; 4-byte Folded Spill
	s_nop 0
	buffer_store_dword v65, off, s[64:67], 0 offset:624 ; 4-byte Folded Spill
	buffer_store_dword v66, off, s[64:67], 0 offset:652 ; 4-byte Folded Spill
	s_nop 0
	buffer_store_dword v67, off, s[64:67], 0 offset:656 ; 4-byte Folded Spill
	v_mul_f64 v[58:59], v[250:251], s[56:57]
	v_fma_f64 v[64:65], v[230:231], s[36:37], v[50:51]
	v_fma_f64 v[40:41], v[246:247], s[8:9], -v[40:41]
	v_add_f64 v[32:33], v[162:163], v[32:33]
	v_add_f64 v[44:45], v[52:53], v[44:45]
	v_mul_f64 v[52:53], v[26:27], s[56:57]
	v_fma_f64 v[66:67], v[240:241], s[36:37], -v[54:55]
	v_add_f64 v[48:49], v[56:57], v[48:49]
	buffer_store_dword v60, off, s[64:67], 0 offset:604 ; 4-byte Folded Spill
	s_nop 0
	buffer_store_dword v61, off, s[64:67], 0 offset:608 ; 4-byte Folded Spill
	buffer_store_dword v62, off, s[64:67], 0 offset:596 ; 4-byte Folded Spill
	s_nop 0
	buffer_store_dword v63, off, s[64:67], 0 offset:600 ; 4-byte Folded Spill
	v_mul_f64 v[42:43], v[8:9], s[26:27]
	v_fma_f64 v[50:51], v[230:231], s[36:37], -v[50:51]
	v_fma_f64 v[60:61], v[4:5], s[10:11], v[58:59]
	v_add_f64 v[32:33], v[40:41], v[32:33]
	v_add_f64 v[40:41], v[64:65], v[44:45]
	v_mul_f64 v[44:45], v[18:19], s[26:27]
	v_fma_f64 v[62:63], v[228:229], s[10:11], -v[52:53]
	v_add_f64 v[48:49], v[66:67], v[48:49]
	v_mul_f64 v[38:39], v[14:15], s[52:53]
	v_mul_f64 v[64:65], v[28:29], s[52:53]
	v_fma_f64 v[66:67], v[12:13], s[28:29], v[42:43]
	v_fma_f64 v[58:59], v[4:5], s[10:11], -v[58:59]
	v_add_f64 v[32:33], v[50:51], v[32:33]
	v_add_f64 v[40:41], v[60:61], v[40:41]
	v_fma_f64 v[60:61], v[248:249], s[28:29], -v[44:45]
	v_add_f64 v[48:49], v[62:63], v[48:49]
	v_mul_f64 v[36:37], v[116:117], s[42:43]
	v_mul_f64 v[56:57], v[30:31], s[42:43]
	v_fma_f64 v[62:63], v[254:255], s[22:23], v[38:39]
	v_fma_f64 v[42:43], v[12:13], s[28:29], -v[42:43]
	v_fma_f64 v[34:35], v[232:233], s[34:35], v[34:35]
	v_add_f64 v[32:33], v[58:59], v[32:33]
	v_add_f64 v[40:41], v[66:67], v[40:41]
	v_fma_f64 v[66:67], v[6:7], s[22:23], -v[64:65]
	v_add_f64 v[48:49], v[60:61], v[48:49]
	s_mov_b32 s61, 0x3fefdd0d
	s_mov_b32 s60, s24
	v_mul_f64 v[50:51], v[20:21], s[60:61]
	v_fma_f64 v[58:59], v[252:253], s[38:39], v[36:37]
	v_fma_f64 v[38:39], v[254:255], s[22:23], -v[38:39]
	v_fma_f64 v[46:47], v[236:237], s[8:9], v[46:47]
	v_add_f64 v[34:35], v[160:161], v[34:35]
	v_add_f64 v[32:33], v[42:43], v[32:33]
	;; [unrolled: 1-line block ×3, first 2 shown]
	v_mul_f64 v[42:43], v[22:23], s[60:61]
	v_fma_f64 v[60:61], v[24:25], s[38:39], -v[56:57]
	v_add_f64 v[48:49], v[66:67], v[48:49]
	v_fma_f64 v[62:63], v[16:17], s[16:17], v[50:51]
	v_fma_f64 v[36:37], v[252:253], s[38:39], -v[36:37]
	v_add_f64 v[34:35], v[46:47], v[34:35]
	v_add_f64 v[32:33], v[38:39], v[32:33]
	;; [unrolled: 1-line block ×3, first 2 shown]
	v_fma_f64 v[40:41], v[118:119], s[16:17], -v[42:43]
	v_fma_f64 v[54:55], v[240:241], s[36:37], v[54:55]
	v_add_f64 v[46:47], v[60:61], v[48:49]
	v_fma_f64 v[48:49], v[16:17], s[16:17], -v[50:51]
	v_fma_f64 v[50:51], v[228:229], s[10:11], v[52:53]
	v_mul_f64 v[52:53], v[234:235], s[48:49]
	v_add_f64 v[32:33], v[36:37], v[32:33]
	v_add_f64 v[38:39], v[62:63], v[38:39]
	s_mov_b32 s59, 0x3fe9895b
	v_add_f64 v[34:35], v[54:55], v[34:35]
	v_add_f64 v[36:37], v[40:41], v[46:47]
	buffer_store_dword v36, off, s[64:67], 0 offset:580 ; 4-byte Folded Spill
	s_nop 0
	buffer_store_dword v37, off, s[64:67], 0 offset:584 ; 4-byte Folded Spill
	buffer_store_dword v38, off, s[64:67], 0 offset:588 ; 4-byte Folded Spill
	;; [unrolled: 1-line block ×3, first 2 shown]
	v_fma_f64 v[36:37], v[248:249], s[28:29], v[44:45]
	v_mul_f64 v[38:39], v[242:243], s[52:53]
	v_fma_f64 v[40:41], v[238:239], s[36:37], v[52:53]
	v_add_f64 v[34:35], v[50:51], v[34:35]
	v_add_f64 v[74:75], v[48:49], v[32:33]
	v_mul_f64 v[32:33], v[0:1], s[48:49]
	v_mul_f64 v[48:49], v[244:245], s[24:25]
	s_mov_b32 s58, s26
	v_fma_f64 v[44:45], v[24:25], s[38:39], v[56:57]
	v_fma_f64 v[50:51], v[246:247], s[22:23], v[38:39]
	v_add_f64 v[40:41], v[162:163], v[40:41]
	v_add_f64 v[34:35], v[36:37], v[34:35]
	v_mul_f64 v[36:37], v[2:3], s[52:53]
	v_fma_f64 v[54:55], v[232:233], s[36:37], -v[32:33]
	v_fma_f64 v[46:47], v[6:7], s[22:23], v[64:65]
	v_mul_f64 v[56:57], v[250:251], s[58:59]
	v_fma_f64 v[58:59], v[230:231], s[16:17], v[48:49]
	v_fma_f64 v[32:33], v[232:233], s[36:37], v[32:33]
	v_add_f64 v[40:41], v[50:51], v[40:41]
	v_mul_f64 v[50:51], v[10:11], s[24:25]
	v_fma_f64 v[60:61], v[236:237], s[22:23], -v[36:37]
	v_add_f64 v[54:55], v[160:161], v[54:55]
	v_add_f64 v[34:35], v[46:47], v[34:35]
	v_mul_f64 v[46:47], v[8:9], s[20:21]
	v_fma_f64 v[62:63], v[4:5], s[28:29], v[56:57]
	buffer_store_dword v71, off, s[64:67], 0 offset:644 ; 4-byte Folded Spill
	s_nop 0
	buffer_store_dword v72, off, s[64:67], 0 offset:648 ; 4-byte Folded Spill
	v_add_f64 v[40:41], v[58:59], v[40:41]
	v_mul_f64 v[58:59], v[26:27], s[58:59]
	v_fma_f64 v[64:65], v[240:241], s[16:17], -v[50:51]
	v_add_f64 v[54:55], v[60:61], v[54:55]
	v_add_f64 v[34:35], v[44:45], v[34:35]
	v_fma_f64 v[44:45], v[238:239], s[36:37], -v[52:53]
	v_mul_f64 v[52:53], v[14:15], s[50:51]
	v_fma_f64 v[60:61], v[12:13], s[8:9], v[46:47]
	v_add_f64 v[40:41], v[62:63], v[40:41]
	v_mul_f64 v[62:63], v[18:19], s[20:21]
	v_fma_f64 v[66:67], v[228:229], s[28:29], -v[58:59]
	v_add_f64 v[54:55], v[64:65], v[54:55]
	v_fma_f64 v[38:39], v[246:247], s[22:23], -v[38:39]
	v_add_f64 v[44:45], v[162:163], v[44:45]
	v_fma_f64 v[71:72], v[254:255], s[34:35], v[52:53]
	v_fma_f64 v[36:37], v[236:237], s[22:23], v[36:37]
	v_add_f64 v[40:41], v[60:61], v[40:41]
	v_mul_f64 v[60:61], v[28:29], s[50:51]
	v_add_f64 v[32:33], v[160:161], v[32:33]
	v_add_f64 v[54:55], v[66:67], v[54:55]
	v_fma_f64 v[66:67], v[248:249], s[8:9], -v[62:63]
	v_add_f64 v[38:39], v[38:39], v[44:45]
	v_mul_f64 v[44:45], v[116:117], s[56:57]
	v_fma_f64 v[48:49], v[230:231], s[16:17], -v[48:49]
	v_add_f64 v[40:41], v[71:72], v[40:41]
	v_fma_f64 v[71:72], v[6:7], s[34:35], -v[60:61]
	v_fma_f64 v[50:51], v[240:241], s[16:17], v[50:51]
	v_add_f64 v[32:33], v[36:37], v[32:33]
	v_add_f64 v[54:55], v[66:67], v[54:55]
	v_mul_f64 v[66:67], v[30:31], s[56:57]
	v_mul_f64 v[64:65], v[20:21], s[42:43]
	v_fma_f64 v[36:37], v[252:253], s[10:11], v[44:45]
	v_add_f64 v[38:39], v[48:49], v[38:39]
	v_mul_f64 v[48:49], v[22:23], s[42:43]
	v_fma_f64 v[56:57], v[4:5], s[28:29], -v[56:57]
	v_fma_f64 v[58:59], v[228:229], s[28:29], v[58:59]
	v_add_f64 v[54:55], v[71:72], v[54:55]
	v_fma_f64 v[71:72], v[24:25], s[10:11], -v[66:67]
	v_add_f64 v[32:33], v[50:51], v[32:33]
	v_fma_f64 v[42:43], v[118:119], s[16:17], v[42:43]
	v_fma_f64 v[50:51], v[16:17], s[38:39], v[64:65]
	v_add_f64 v[36:37], v[36:37], v[40:41]
	v_fma_f64 v[40:41], v[12:13], s[8:9], -v[46:47]
	v_fma_f64 v[46:47], v[118:119], s[38:39], -v[48:49]
	v_add_f64 v[38:39], v[56:57], v[38:39]
	v_add_f64 v[54:55], v[71:72], v[54:55]
	v_fma_f64 v[56:57], v[248:249], s[8:9], v[62:63]
	v_add_f64 v[32:33], v[58:59], v[32:33]
	v_mov_b32_e32 v58, v73
	v_add_f64 v[72:73], v[42:43], v[34:35]
	v_fma_f64 v[34:35], v[254:255], s[34:35], -v[52:53]
	v_add_f64 v[52:53], v[50:51], v[36:37]
	v_add_f64 v[38:39], v[40:41], v[38:39]
	;; [unrolled: 1-line block ×3, first 2 shown]
	v_fma_f64 v[36:37], v[6:7], s[34:35], v[60:61]
	v_add_f64 v[32:33], v[56:57], v[32:33]
	buffer_store_dword v72, off, s[64:67], 0 offset:628 ; 4-byte Folded Spill
	s_nop 0
	buffer_store_dword v73, off, s[64:67], 0 offset:632 ; 4-byte Folded Spill
	buffer_store_dword v74, off, s[64:67], 0 offset:636 ; 4-byte Folded Spill
	;; [unrolled: 1-line block ×4, first 2 shown]
	s_nop 0
	buffer_store_dword v51, off, s[64:67], 0 offset:664 ; 4-byte Folded Spill
	buffer_store_dword v52, off, s[64:67], 0 offset:668 ; 4-byte Folded Spill
	;; [unrolled: 1-line block ×3, first 2 shown]
	v_fma_f64 v[40:41], v[252:253], s[10:11], -v[44:45]
	v_add_f64 v[34:35], v[34:35], v[38:39]
	v_fma_f64 v[52:53], v[24:25], s[10:11], v[66:67]
	v_add_f64 v[32:33], v[36:37], v[32:33]
	v_mul_f64 v[42:43], v[234:235], s[26:27]
	v_fma_f64 v[38:39], v[16:17], s[38:39], -v[64:65]
	v_fma_f64 v[48:49], v[118:119], s[38:39], v[48:49]
	v_mul_f64 v[44:45], v[242:243], s[46:47]
	v_mul_f64 v[50:51], v[0:1], s[26:27]
	v_add_f64 v[34:35], v[40:41], v[34:35]
	v_mul_f64 v[36:37], v[244:245], s[20:21]
	v_add_f64 v[32:33], v[52:53], v[32:33]
	v_fma_f64 v[46:47], v[238:239], s[28:29], v[42:43]
	v_mul_f64 v[40:41], v[2:3], s[46:47]
	v_mov_b32_e32 v73, v58
	v_fma_f64 v[54:55], v[246:247], s[38:39], v[44:45]
	v_fma_f64 v[56:57], v[232:233], s[28:29], -v[50:51]
	v_add_f64 v[34:35], v[38:39], v[34:35]
	v_mul_f64 v[52:53], v[250:251], s[48:49]
	v_add_f64 v[32:33], v[48:49], v[32:33]
	v_add_f64 v[46:47], v[162:163], v[46:47]
	buffer_store_dword v32, off, s[64:67], 0 offset:676 ; 4-byte Folded Spill
	s_nop 0
	buffer_store_dword v33, off, s[64:67], 0 offset:680 ; 4-byte Folded Spill
	buffer_store_dword v34, off, s[64:67], 0 offset:684 ; 4-byte Folded Spill
	;; [unrolled: 1-line block ×3, first 2 shown]
	v_fma_f64 v[58:59], v[230:231], s[8:9], v[36:37]
	v_add_f64 v[46:47], v[54:55], v[46:47]
	v_mul_f64 v[54:55], v[10:11], s[20:21]
	v_fma_f64 v[60:61], v[236:237], s[38:39], -v[40:41]
	v_add_f64 v[56:57], v[160:161], v[56:57]
	v_fma_f64 v[32:33], v[238:239], s[28:29], -v[42:43]
	v_mul_f64 v[34:35], v[8:9], s[60:61]
	v_fma_f64 v[38:39], v[4:5], s[36:37], v[52:53]
	v_fma_f64 v[44:45], v[246:247], s[38:39], -v[44:45]
	v_add_f64 v[42:43], v[58:59], v[46:47]
	v_fma_f64 v[46:47], v[240:241], s[8:9], -v[54:55]
	v_mul_f64 v[58:59], v[14:15], s[18:19]
	v_add_f64 v[48:49], v[60:61], v[56:57]
	v_mul_f64 v[56:57], v[26:27], s[48:49]
	v_add_f64 v[32:33], v[162:163], v[32:33]
	v_fma_f64 v[60:61], v[12:13], s[16:17], v[34:35]
	v_fma_f64 v[36:37], v[230:231], s[8:9], -v[36:37]
	v_add_f64 v[38:39], v[38:39], v[42:43]
	v_mul_f64 v[42:43], v[18:19], s[60:61]
	v_fma_f64 v[52:53], v[4:5], s[36:37], -v[52:53]
	v_add_f64 v[46:47], v[46:47], v[48:49]
	v_fma_f64 v[48:49], v[228:229], s[36:37], -v[56:57]
	v_add_f64 v[32:33], v[44:45], v[32:33]
	v_mul_f64 v[44:45], v[116:117], s[50:51]
	v_fma_f64 v[34:35], v[12:13], s[16:17], -v[34:35]
	v_add_f64 v[38:39], v[60:61], v[38:39]
	v_fma_f64 v[60:61], v[254:255], s[10:11], v[58:59]
	v_fma_f64 v[58:59], v[254:255], s[10:11], -v[58:59]
	v_fma_f64 v[50:51], v[232:233], s[28:29], v[50:51]
	v_add_f64 v[46:47], v[48:49], v[46:47]
	v_fma_f64 v[48:49], v[248:249], s[16:17], -v[42:43]
	v_add_f64 v[32:33], v[36:37], v[32:33]
	v_mul_f64 v[36:37], v[28:29], s[18:19]
	v_fma_f64 v[40:41], v[236:237], s[38:39], v[40:41]
	v_add_f64 v[38:39], v[60:61], v[38:39]
	v_fma_f64 v[60:61], v[252:253], s[34:35], v[44:45]
	v_add_f64 v[50:51], v[160:161], v[50:51]
	v_fma_f64 v[44:45], v[252:253], s[34:35], -v[44:45]
	v_add_f64 v[46:47], v[48:49], v[46:47]
	v_add_f64 v[32:33], v[52:53], v[32:33]
	v_fma_f64 v[48:49], v[6:7], s[10:11], -v[36:37]
	v_mul_f64 v[52:53], v[30:31], s[50:51]
	v_fma_f64 v[42:43], v[248:249], s[16:17], v[42:43]
	v_add_f64 v[38:39], v[60:61], v[38:39]
	v_mul_f64 v[60:61], v[20:21], s[52:53]
	v_add_f64 v[40:41], v[40:41], v[50:51]
	v_mul_f64 v[50:51], v[234:235], s[42:43]
	v_add_f64 v[32:33], v[34:35], v[32:33]
	v_add_f64 v[46:47], v[48:49], v[46:47]
	v_fma_f64 v[48:49], v[24:25], s[34:35], -v[52:53]
	v_mul_f64 v[34:35], v[22:23], s[52:53]
	v_fma_f64 v[36:37], v[6:7], s[10:11], v[36:37]
	v_fma_f64 v[52:53], v[24:25], s[34:35], v[52:53]
	v_mov_b32_e32 v80, v79
	v_mov_b32_e32 v79, v78
	v_add_f64 v[32:33], v[58:59], v[32:33]
	v_mov_b32_e32 v78, v77
	v_add_f64 v[46:47], v[48:49], v[46:47]
	v_fma_f64 v[48:49], v[16:17], s[22:23], v[60:61]
	v_fma_f64 v[58:59], v[118:119], s[22:23], -v[34:35]
	v_fma_f64 v[34:35], v[118:119], s[22:23], v[34:35]
	v_mov_b32_e32 v77, v76
	v_mov_b32_e32 v76, v77
	v_add_f64 v[32:33], v[44:45], v[32:33]
	v_fma_f64 v[44:45], v[228:229], s[36:37], v[56:57]
	v_fma_f64 v[56:57], v[16:17], s[22:23], -v[60:61]
	v_add_f64 v[48:49], v[48:49], v[38:39]
	v_add_f64 v[46:47], v[58:59], v[46:47]
	buffer_store_dword v46, off, s[64:67], 0 offset:692 ; 4-byte Folded Spill
	s_nop 0
	buffer_store_dword v47, off, s[64:67], 0 offset:696 ; 4-byte Folded Spill
	buffer_store_dword v48, off, s[64:67], 0 offset:700 ; 4-byte Folded Spill
	;; [unrolled: 1-line block ×3, first 2 shown]
	v_fma_f64 v[38:39], v[240:241], s[8:9], v[54:55]
	v_mul_f64 v[46:47], v[242:243], s[44:45]
	v_fma_f64 v[48:49], v[238:239], s[38:39], v[50:51]
	v_add_f64 v[58:59], v[56:57], v[32:33]
	v_fma_f64 v[50:51], v[238:239], s[38:39], -v[50:51]
	v_mov_b32_e32 v77, v78
	v_mov_b32_e32 v78, v79
	;; [unrolled: 1-line block ×3, first 2 shown]
	v_add_f64 v[38:39], v[38:39], v[40:41]
	v_mul_f64 v[40:41], v[244:245], s[56:57]
	v_fma_f64 v[54:55], v[246:247], s[36:37], v[46:47]
	v_add_f64 v[48:49], v[162:163], v[48:49]
	v_fma_f64 v[46:47], v[246:247], s[36:37], -v[46:47]
	v_add_f64 v[50:51], v[162:163], v[50:51]
	v_mul_f64 v[66:67], v[242:243], s[24:25]
	v_mul_f64 v[74:75], v[244:245], s[26:27]
	v_add_f64 v[38:39], v[44:45], v[38:39]
	v_fma_f64 v[44:45], v[230:231], s[10:11], v[40:41]
	v_fma_f64 v[40:41], v[230:231], s[10:11], -v[40:41]
	v_add_f64 v[48:49], v[54:55], v[48:49]
	v_mul_f64 v[54:55], v[250:251], s[30:31]
	v_add_f64 v[46:47], v[46:47], v[50:51]
	v_mul_f64 v[71:72], v[240:241], s[28:29]
	;; [unrolled: 2-line block ×3, first 2 shown]
	v_add_f64 v[44:45], v[44:45], v[48:49]
	v_fma_f64 v[48:49], v[4:5], s[22:23], v[54:55]
	v_add_f64 v[40:41], v[40:41], v[46:47]
	v_add_f64 v[36:37], v[36:37], v[38:39]
	v_fma_f64 v[38:39], v[12:13], s[34:35], v[42:43]
	v_fma_f64 v[42:43], v[12:13], s[34:35], -v[42:43]
	v_add_f64 v[44:45], v[48:49], v[44:45]
	v_mul_f64 v[48:49], v[14:15], s[60:61]
	v_add_f64 v[36:37], v[52:53], v[36:37]
	v_mul_f64 v[52:53], v[116:117], s[20:21]
	v_add_f64 v[38:39], v[38:39], v[44:45]
	v_fma_f64 v[44:45], v[254:255], s[16:17], v[48:49]
	v_fma_f64 v[48:49], v[254:255], s[16:17], -v[48:49]
	v_add_f64 v[56:57], v[34:35], v[36:37]
	v_fma_f64 v[32:33], v[252:253], s[8:9], v[52:53]
	v_mul_f64 v[36:37], v[0:1], s[42:43]
	buffer_store_dword v56, off, s[64:67], 0 offset:708 ; 4-byte Folded Spill
	s_nop 0
	buffer_store_dword v57, off, s[64:67], 0 offset:712 ; 4-byte Folded Spill
	buffer_store_dword v58, off, s[64:67], 0 offset:716 ; 4-byte Folded Spill
	;; [unrolled: 1-line block ×3, first 2 shown]
	v_add_f64 v[34:35], v[44:45], v[38:39]
	v_mul_f64 v[38:39], v[2:3], s[44:45]
	v_fma_f64 v[52:53], v[252:253], s[8:9], -v[52:53]
	v_add_f64 v[32:33], v[32:33], v[34:35]
	v_fma_f64 v[34:35], v[232:233], s[38:39], -v[36:37]
	v_fma_f64 v[44:45], v[236:237], s[36:37], -v[38:39]
	v_fma_f64 v[36:37], v[232:233], s[38:39], v[36:37]
	v_fma_f64 v[38:39], v[236:237], s[36:37], v[38:39]
	v_add_f64 v[34:35], v[160:161], v[34:35]
	v_add_f64 v[36:37], v[160:161], v[36:37]
	;; [unrolled: 1-line block ×3, first 2 shown]
	v_mul_f64 v[44:45], v[10:11], s[56:57]
	v_add_f64 v[36:37], v[38:39], v[36:37]
	v_fma_f64 v[56:57], v[240:241], s[10:11], -v[44:45]
	v_fma_f64 v[38:39], v[240:241], s[10:11], v[44:45]
	v_fma_f64 v[44:45], v[4:5], s[22:23], -v[54:55]
	v_add_f64 v[34:35], v[56:57], v[34:35]
	v_mul_f64 v[56:57], v[26:27], s[30:31]
	v_add_f64 v[36:37], v[38:39], v[36:37]
	v_mul_f64 v[38:39], v[28:29], s[60:61]
	v_add_f64 v[40:41], v[44:45], v[40:41]
	v_fma_f64 v[58:59], v[228:229], s[22:23], -v[56:57]
	v_fma_f64 v[46:47], v[228:229], s[22:23], v[56:57]
	v_fma_f64 v[44:45], v[6:7], s[16:17], -v[38:39]
	v_add_f64 v[40:41], v[42:43], v[40:41]
	v_fma_f64 v[38:39], v[6:7], s[16:17], v[38:39]
	v_add_f64 v[34:35], v[58:59], v[34:35]
	v_mul_f64 v[58:59], v[18:19], s[50:51]
	v_add_f64 v[36:37], v[46:47], v[36:37]
	v_mul_f64 v[46:47], v[30:31], s[20:21]
	v_add_f64 v[40:41], v[48:49], v[40:41]
	v_fma_f64 v[60:61], v[248:249], s[34:35], -v[58:59]
	v_fma_f64 v[50:51], v[248:249], s[34:35], v[58:59]
	v_fma_f64 v[42:43], v[24:25], s[8:9], -v[46:47]
	v_add_f64 v[40:41], v[52:53], v[40:41]
	v_add_f64 v[34:35], v[60:61], v[34:35]
	;; [unrolled: 1-line block ×3, first 2 shown]
	v_mul_f64 v[50:51], v[22:23], s[26:27]
	v_add_f64 v[34:35], v[44:45], v[34:35]
	v_mul_f64 v[44:45], v[20:21], s[26:27]
	v_fma_f64 v[48:49], v[118:119], s[28:29], -v[50:51]
	v_add_f64 v[36:37], v[38:39], v[36:37]
	v_mul_f64 v[38:39], v[234:235], s[24:25]
	v_add_f64 v[34:35], v[42:43], v[34:35]
	v_fma_f64 v[42:43], v[16:17], s[28:29], v[44:45]
	v_fma_f64 v[44:45], v[16:17], s[28:29], -v[44:45]
	v_add_f64 v[54:55], v[48:49], v[34:35]
	v_add_f64 v[56:57], v[42:43], v[32:33]
	v_fma_f64 v[32:33], v[24:25], s[8:9], v[46:47]
	v_mul_f64 v[34:35], v[242:243], s[50:51]
	v_fma_f64 v[42:43], v[238:239], s[16:17], v[38:39]
	v_fma_f64 v[46:47], v[118:119], s[28:29], v[50:51]
	v_add_f64 v[82:83], v[44:45], v[40:41]
	v_mul_f64 v[50:51], v[14:15], s[48:49]
	v_fma_f64 v[38:39], v[238:239], s[16:17], -v[38:39]
	buffer_store_dword v54, off, s[64:67], 0 offset:724 ; 4-byte Folded Spill
	s_nop 0
	buffer_store_dword v55, off, s[64:67], 0 offset:728 ; 4-byte Folded Spill
	buffer_store_dword v56, off, s[64:67], 0 offset:732 ; 4-byte Folded Spill
	;; [unrolled: 1-line block ×3, first 2 shown]
	v_add_f64 v[32:33], v[32:33], v[36:37]
	v_mul_f64 v[36:37], v[244:245], s[46:47]
	v_fma_f64 v[48:49], v[246:247], s[34:35], v[34:35]
	v_add_f64 v[42:43], v[162:163], v[42:43]
	v_mul_f64 v[56:57], v[2:3], s[50:51]
	v_fma_f64 v[34:35], v[246:247], s[34:35], -v[34:35]
	v_add_f64 v[38:39], v[162:163], v[38:39]
	v_add_f64 v[44:45], v[162:163], v[190:191]
	;; [unrolled: 1-line block ×3, first 2 shown]
	v_fma_f64 v[32:33], v[230:231], s[38:39], v[36:37]
	v_fma_f64 v[36:37], v[230:231], s[38:39], -v[36:37]
	v_add_f64 v[40:41], v[48:49], v[42:43]
	v_mul_f64 v[42:43], v[250:251], s[54:55]
	v_mul_f64 v[48:49], v[8:9], s[30:31]
	v_fma_f64 v[58:59], v[236:237], s[34:35], -v[56:57]
	v_add_f64 v[34:35], v[34:35], v[38:39]
	v_fma_f64 v[38:39], v[236:237], s[34:35], v[56:57]
	v_add_f64 v[46:47], v[160:161], v[188:189]
	v_add_f64 v[44:45], v[44:45], v[194:195]
	;; [unrolled: 1-line block ×3, first 2 shown]
	v_fma_f64 v[40:41], v[4:5], s[8:9], v[42:43]
	v_fma_f64 v[52:53], v[12:13], s[22:23], v[48:49]
	v_mul_f64 v[2:3], v[2:3], s[26:27]
	v_add_f64 v[34:35], v[36:37], v[34:35]
	v_fma_f64 v[36:37], v[4:5], s[8:9], -v[42:43]
	v_add_f64 v[46:47], v[46:47], v[192:193]
	v_add_f64 v[32:33], v[40:41], v[32:33]
	v_fma_f64 v[40:41], v[254:255], s[36:37], v[50:51]
	v_add_f64 v[34:35], v[36:37], v[34:35]
	v_add_f64 v[32:33], v[52:53], v[32:33]
	v_mul_f64 v[52:53], v[116:117], s[58:59]
	v_add_f64 v[32:33], v[40:41], v[32:33]
	v_fma_f64 v[40:41], v[252:253], s[28:29], v[52:53]
	v_fma_f64 v[52:53], v[252:253], s[28:29], -v[52:53]
	v_add_f64 v[32:33], v[40:41], v[32:33]
	v_mul_f64 v[40:41], v[0:1], s[24:25]
	v_mul_f64 v[0:1], v[0:1], s[30:31]
	v_fma_f64 v[54:55], v[232:233], s[16:17], -v[40:41]
	v_fma_f64 v[36:37], v[232:233], s[16:17], v[40:41]
	v_fma_f64 v[40:41], v[12:13], s[22:23], -v[48:49]
	v_fma_f64 v[48:49], v[254:255], s[36:37], -v[50:51]
	v_mul_f64 v[50:51], v[20:21], s[56:57]
	v_add_f64 v[54:55], v[160:161], v[54:55]
	v_add_f64 v[36:37], v[160:161], v[36:37]
	;; [unrolled: 1-line block ×4, first 2 shown]
	v_mul_f64 v[58:59], v[10:11], s[46:47]
	v_add_f64 v[36:37], v[38:39], v[36:37]
	v_add_f64 v[34:35], v[48:49], v[34:35]
	v_fma_f64 v[60:61], v[240:241], s[38:39], -v[58:59]
	v_fma_f64 v[38:39], v[240:241], s[38:39], v[58:59]
	v_add_f64 v[34:35], v[52:53], v[34:35]
	v_add_f64 v[54:55], v[60:61], v[54:55]
	v_mul_f64 v[60:61], v[26:27], s[54:55]
	v_add_f64 v[36:37], v[38:39], v[36:37]
	v_mul_f64 v[26:27], v[26:27], s[46:47]
	v_fma_f64 v[62:63], v[228:229], s[8:9], -v[60:61]
	v_fma_f64 v[38:39], v[228:229], s[8:9], v[60:61]
	v_mul_f64 v[60:61], v[116:117], s[24:25]
	v_add_f64 v[54:55], v[62:63], v[54:55]
	v_mul_f64 v[62:63], v[18:19], s[30:31]
	v_add_f64 v[36:37], v[38:39], v[36:37]
	v_mul_f64 v[38:39], v[28:29], s[48:49]
	v_mul_f64 v[18:19], v[18:19], s[56:57]
	;; [unrolled: 1-line block ×3, first 2 shown]
	v_fma_f64 v[64:65], v[248:249], s[22:23], -v[62:63]
	v_fma_f64 v[42:43], v[248:249], s[22:23], v[62:63]
	v_fma_f64 v[40:41], v[6:7], s[36:37], -v[38:39]
	v_fma_f64 v[38:39], v[6:7], s[36:37], v[38:39]
	v_mul_f64 v[62:63], v[232:233], s[8:9]
	v_add_f64 v[54:55], v[64:65], v[54:55]
	v_add_f64 v[36:37], v[42:43], v[36:37]
	v_mul_f64 v[42:43], v[30:31], s[58:59]
	v_mul_f64 v[64:65], v[234:235], s[18:19]
	;; [unrolled: 1-line block ×3, first 2 shown]
	v_add_f64 v[40:41], v[40:41], v[54:55]
	v_add_f64 v[36:37], v[38:39], v[36:37]
	v_fma_f64 v[48:49], v[24:25], s[28:29], -v[42:43]
	v_mul_f64 v[38:39], v[22:23], s[56:57]
	v_fma_f64 v[42:43], v[24:25], s[28:29], v[42:43]
	v_mul_f64 v[54:55], v[250:251], s[46:47]
	v_mul_f64 v[22:23], v[22:23], s[48:49]
	v_add_f64 v[40:41], v[48:49], v[40:41]
	v_fma_f64 v[48:49], v[16:17], s[10:11], v[50:51]
	v_fma_f64 v[50:51], v[16:17], s[10:11], -v[50:51]
	v_fma_f64 v[52:53], v[118:119], s[10:11], -v[38:39]
	v_add_f64 v[36:37], v[42:43], v[36:37]
	v_mul_f64 v[42:43], v[250:251], s[50:51]
	v_add_f64 v[190:191], v[48:49], v[32:33]
	v_add_f64 v[194:195], v[50:51], v[34:35]
	;; [unrolled: 1-line block ×4, first 2 shown]
	v_fma_f64 v[32:33], v[118:119], s[10:11], v[38:39]
	v_mul_f64 v[38:39], v[234:235], s[30:31]
	v_add_f64 v[188:189], v[52:53], v[40:41]
	v_mul_f64 v[40:41], v[20:21], s[50:51]
	s_mov_b32 s51, 0x3fc7851a
	v_fma_f64 v[46:47], v[232:233], s[22:23], -v[0:1]
	v_mul_f64 v[48:49], v[244:245], s[50:51]
	v_add_f64 v[44:45], v[44:45], v[164:165]
	buffer_load_dword v164, off, s[64:67], 0 offset:612 ; 4-byte Folded Reload
	buffer_load_dword v165, off, s[64:67], 0 offset:616 ; 4-byte Folded Reload
	v_add_f64 v[192:193], v[32:33], v[36:37]
	v_mul_f64 v[32:33], v[242:243], s[26:27]
	v_fma_f64 v[36:37], v[238:239], s[22:23], v[38:39]
	v_fma_f64 v[38:39], v[238:239], s[22:23], -v[38:39]
	v_fma_f64 v[52:53], v[236:237], s[28:29], -v[2:3]
	v_add_f64 v[46:47], v[160:161], v[46:47]
	v_add_f64 v[44:45], v[44:45], v[196:197]
	buffer_load_dword v196, off, s[64:67], 0 offset:620 ; 4-byte Folded Reload
	buffer_load_dword v197, off, s[64:67], 0 offset:624 ; 4-byte Folded Reload
	v_fma_f64 v[56:57], v[230:231], s[34:35], v[48:49]
	v_fma_f64 v[50:51], v[246:247], s[28:29], v[32:33]
	v_add_f64 v[36:37], v[162:163], v[36:37]
	v_fma_f64 v[32:33], v[246:247], s[28:29], -v[32:33]
	v_add_f64 v[38:39], v[162:163], v[38:39]
	v_fma_f64 v[48:49], v[230:231], s[34:35], -v[48:49]
	v_mul_f64 v[10:11], v[10:11], s[50:51]
	v_add_f64 v[46:47], v[52:53], v[46:47]
	v_fma_f64 v[52:53], v[4:5], s[38:39], v[54:55]
	v_fma_f64 v[4:5], v[4:5], s[38:39], -v[54:55]
	v_add_f64 v[36:37], v[50:51], v[36:37]
	v_fma_f64 v[0:1], v[232:233], s[22:23], v[0:1]
	v_add_f64 v[32:33], v[32:33], v[38:39]
	v_fma_f64 v[2:3], v[236:237], s[28:29], v[2:3]
	v_fma_f64 v[50:51], v[240:241], s[34:35], -v[10:11]
	v_mul_f64 v[54:55], v[232:233], s[10:11]
	v_fma_f64 v[10:11], v[240:241], s[34:35], v[10:11]
	v_mul_f64 v[38:39], v[234:235], s[20:21]
	v_add_f64 v[36:37], v[56:57], v[36:37]
	v_mul_f64 v[56:57], v[8:9], s[56:57]
	v_add_f64 v[32:33], v[48:49], v[32:33]
	v_add_f64 v[0:1], v[160:161], v[0:1]
	;; [unrolled: 1-line block ×3, first 2 shown]
	v_fma_f64 v[50:51], v[228:229], s[38:39], -v[26:27]
	v_fma_f64 v[26:27], v[228:229], s[38:39], v[26:27]
	v_add_f64 v[34:35], v[34:35], v[166:167]
	v_mul_f64 v[178:179], v[8:9], s[42:43]
	v_fma_f64 v[58:59], v[12:13], s[10:11], v[56:57]
	v_fma_f64 v[12:13], v[12:13], s[10:11], -v[56:57]
	v_add_f64 v[4:5], v[4:5], v[32:33]
	v_add_f64 v[0:1], v[2:3], v[0:1]
	v_add_f64 v[46:47], v[50:51], v[46:47]
	v_fma_f64 v[50:51], v[248:249], s[10:11], -v[18:19]
	v_fma_f64 v[18:19], v[248:249], s[10:11], v[18:19]
	v_add_f64 v[34:35], v[34:35], v[198:199]
	v_mul_f64 v[198:199], v[6:7], s[28:29]
	v_mul_f64 v[8:9], v[8:9], s[44:45]
	v_add_f64 v[4:5], v[12:13], v[4:5]
	v_mul_f64 v[12:13], v[228:229], s[34:35]
	v_add_f64 v[0:1], v[10:11], v[0:1]
	v_add_f64 v[46:47], v[50:51], v[46:47]
	v_fma_f64 v[50:51], v[6:7], s[8:9], -v[28:29]
	v_add_f64 v[36:37], v[52:53], v[36:37]
	v_mul_f64 v[52:53], v[14:15], s[20:21]
	v_mul_f64 v[2:3], v[116:117], s[48:49]
	v_mul_f64 v[116:117], v[116:117], s[52:53]
	v_mul_f64 v[230:231], v[24:25], s[36:37]
	v_add_f64 v[0:1], v[26:27], v[0:1]
	v_mul_f64 v[56:57], v[240:241], s[22:23]
	v_add_f64 v[46:47], v[50:51], v[46:47]
	v_add_f64 v[36:37], v[58:59], v[36:37]
	v_fma_f64 v[58:59], v[254:255], s[8:9], v[52:53]
	v_fma_f64 v[52:53], v[254:255], s[8:9], -v[52:53]
	v_fma_f64 v[50:51], v[24:25], s[16:17], -v[30:31]
	v_mul_f64 v[48:49], v[236:237], s[10:11]
	v_add_f64 v[0:1], v[18:19], v[0:1]
	v_mul_f64 v[32:33], v[244:245], s[30:31]
	v_mul_f64 v[166:167], v[250:251], s[24:25]
	;; [unrolled: 1-line block ×3, first 2 shown]
	v_add_f64 v[36:37], v[58:59], v[36:37]
	v_add_f64 v[4:5], v[52:53], v[4:5]
	v_fma_f64 v[58:59], v[252:253], s[16:17], v[60:61]
	v_add_f64 v[46:47], v[50:51], v[46:47]
	v_mul_f64 v[50:51], v[236:237], s[16:17]
	v_mul_f64 v[10:11], v[118:119], s[34:35]
	v_fma_f64 v[60:61], v[252:253], s[16:17], -v[60:61]
	v_fma_f64 v[236:237], v[118:119], s[36:37], -v[22:23]
	v_fma_f64 v[22:23], v[118:119], s[36:37], v[22:23]
	v_add_f64 v[36:37], v[58:59], v[36:37]
	v_mul_f64 v[58:59], v[242:243], s[18:19]
	s_waitcnt vmcnt(2)
	v_add_f64 v[64:65], v[164:165], -v[64:65]
	v_mul_f64 v[164:165], v[228:229], s[16:17]
	buffer_load_dword v228, off, s[64:67], 0 offset:452 ; 4-byte Folded Reload
	buffer_load_dword v229, off, s[64:67], 0 offset:456 ; 4-byte Folded Reload
	;; [unrolled: 1-line block ×10, first 2 shown]
	v_add_f64 v[4:5], v[60:61], v[4:5]
	s_waitcnt vmcnt(10)
	v_add_f64 v[66:67], v[196:197], -v[66:67]
	v_add_f64 v[64:65], v[162:163], v[64:65]
	v_mul_f64 v[196:197], v[248:249], s[36:37]
	v_add_f64 v[64:65], v[66:67], v[64:65]
	v_mul_f64 v[66:67], v[6:7], s[38:39]
	v_fma_f64 v[6:7], v[6:7], s[8:9], v[28:29]
	v_add_f64 v[0:1], v[6:7], v[0:1]
	buffer_load_dword v6, off, s[64:67], 0 offset:468 ; 4-byte Folded Reload
	buffer_load_dword v7, off, s[64:67], 0 offset:472 ; 4-byte Folded Reload
	s_waitcnt vmcnt(10)
	v_add_f64 v[74:75], v[228:229], -v[74:75]
	s_waitcnt vmcnt(8)
	v_add_f64 v[42:43], v[232:233], -v[42:43]
	v_mul_f64 v[228:229], v[14:15], s[26:27]
	v_mul_f64 v[14:15], v[14:15], s[46:47]
	s_waitcnt vmcnt(6)
	v_add_f64 v[8:9], v[234:235], -v[8:9]
	s_waitcnt vmcnt(2)
	v_add_f64 v[18:19], v[18:19], -v[116:117]
	v_mul_f64 v[232:233], v[24:25], s[22:23]
	v_fma_f64 v[24:25], v[24:25], s[16:17], v[30:31]
	v_add_f64 v[64:65], v[74:75], v[64:65]
	v_mul_f64 v[74:75], v[20:21], s[48:49]
	v_mul_f64 v[20:21], v[20:21], s[54:55]
	v_add_f64 v[14:15], v[26:27], -v[14:15]
	v_add_f64 v[26:27], v[34:35], v[170:171]
	v_add_f64 v[34:35], v[44:45], v[168:169]
	v_mul_f64 v[234:235], v[118:119], s[8:9]
	v_add_f64 v[0:1], v[24:25], v[0:1]
	v_add_f64 v[42:43], v[42:43], v[64:65]
	v_fma_f64 v[64:65], v[16:17], s[36:37], v[74:75]
	v_fma_f64 v[16:17], v[16:17], s[36:37], -v[74:75]
	v_add_f64 v[0:1], v[22:23], v[0:1]
	v_add_f64 v[8:9], v[8:9], v[42:43]
	s_waitcnt vmcnt(0)
	v_add_f64 v[6:7], v[6:7], -v[20:21]
	buffer_load_dword v20, off, s[64:67], 0 offset:572 ; 4-byte Folded Reload
	buffer_load_dword v21, off, s[64:67], 0 offset:576 ; 4-byte Folded Reload
	v_add_f64 v[8:9], v[14:15], v[8:9]
	v_add_f64 v[14:15], v[26:27], v[182:183]
	;; [unrolled: 1-line block ×6, first 2 shown]
	buffer_load_dword v26, off, s[64:67], 0 offset:540 ; 4-byte Folded Reload
	buffer_load_dword v27, off, s[64:67], 0 offset:544 ; 4-byte Folded Reload
	;; [unrolled: 1-line block ×4, first 2 shown]
	v_add_f64 v[6:7], v[6:7], v[8:9]
	v_add_f64 v[14:15], v[14:15], v[174:175]
	;; [unrolled: 1-line block ×16, first 2 shown]
	s_waitcnt vmcnt(4)
	v_add_f64 v[20:21], v[20:21], -v[38:39]
	v_add_f64 v[20:21], v[162:163], v[20:21]
	s_waitcnt vmcnt(2)
	v_add_f64 v[26:27], v[62:63], v[26:27]
	s_waitcnt vmcnt(0)
	v_add_f64 v[28:29], v[54:55], v[28:29]
	buffer_load_dword v52, off, s[64:67], 0 offset:484 ; 4-byte Folded Reload
	buffer_load_dword v53, off, s[64:67], 0 offset:488 ; 4-byte Folded Reload
	;; [unrolled: 1-line block ×14, first 2 shown]
	v_add_f64 v[26:27], v[160:161], v[26:27]
	v_add_f64 v[28:29], v[160:161], v[28:29]
	s_waitcnt vmcnt(8)
	v_add_f64 v[30:31], v[50:51], v[30:31]
	s_waitcnt vmcnt(6)
	v_add_f64 v[34:35], v[34:35], -v[58:59]
	s_waitcnt vmcnt(4)
	v_add_f64 v[38:39], v[48:49], v[38:39]
	s_waitcnt vmcnt(2)
	v_add_f64 v[42:43], v[71:72], v[42:43]
	s_waitcnt vmcnt(0)
	v_add_f64 v[32:33], v[44:45], -v[32:33]
	v_add_f64 v[28:29], v[30:31], v[28:29]
	v_add_f64 v[20:21], v[34:35], v[20:21]
	buffer_load_dword v34, off, s[64:67], 0 offset:516 ; 4-byte Folded Reload
	buffer_load_dword v35, off, s[64:67], 0 offset:520 ; 4-byte Folded Reload
	v_add_f64 v[26:27], v[38:39], v[26:27]
	v_add_f64 v[28:29], v[42:43], v[28:29]
	;; [unrolled: 1-line block ×3, first 2 shown]
	s_waitcnt vmcnt(0)
	v_add_f64 v[34:35], v[56:57], v[34:35]
	buffer_load_dword v56, off, s[64:67], 0 offset:500 ; 4-byte Folded Reload
	buffer_load_dword v57, off, s[64:67], 0 offset:504 ; 4-byte Folded Reload
	;; [unrolled: 1-line block ×6, first 2 shown]
	v_add_f64 v[26:27], v[34:35], v[26:27]
	s_waitcnt vmcnt(0)
	v_add_f64 v[12:13], v[12:13], v[30:31]
	buffer_load_dword v30, off, s[64:67], 0 offset:652 ; 4-byte Folded Reload
	buffer_load_dword v31, off, s[64:67], 0 offset:656 ; 4-byte Folded Reload
	;; [unrolled: 1-line block ×8, first 2 shown]
	v_add_f64 v[12:13], v[12:13], v[28:29]
	s_waitcnt vmcnt(6)
	v_add_f64 v[30:31], v[30:31], -v[166:167]
	s_waitcnt vmcnt(4)
	v_add_f64 v[32:33], v[164:165], v[32:33]
	s_waitcnt vmcnt(2)
	v_add_f64 v[34:35], v[196:197], v[34:35]
	s_waitcnt vmcnt(0)
	v_add_f64 v[38:39], v[38:39], -v[178:179]
	v_add_f64 v[20:21], v[30:31], v[20:21]
	buffer_load_dword v30, off, s[64:67], 0 offset:340 ; 4-byte Folded Reload
	buffer_load_dword v31, off, s[64:67], 0 offset:344 ; 4-byte Folded Reload
	v_add_f64 v[26:27], v[32:33], v[26:27]
	buffer_load_dword v28, off, s[64:67], 0 offset:388 ; 4-byte Folded Reload
	buffer_load_dword v29, off, s[64:67], 0 offset:392 ; 4-byte Folded Reload
	;; [unrolled: 1-line block ×4, first 2 shown]
	v_add_f64 v[12:13], v[34:35], v[12:13]
	v_add_f64 v[20:21], v[38:39], v[20:21]
	buffer_load_dword v38, off, s[64:67], 0 offset:372 ; 4-byte Folded Reload
	buffer_load_dword v39, off, s[64:67], 0 offset:376 ; 4-byte Folded Reload
	s_waitcnt vmcnt(6)
	v_add_f64 v[30:31], v[176:177], v[30:31]
	s_waitcnt vmcnt(4)
	v_add_f64 v[28:29], v[66:67], v[28:29]
	s_waitcnt vmcnt(2)
	v_add_f64 v[32:33], v[32:33], -v[228:229]
	v_add_f64 v[26:27], v[30:31], v[26:27]
	buffer_load_dword v30, off, s[64:67], 0 offset:420 ; 4-byte Folded Reload
	buffer_load_dword v31, off, s[64:67], 0 offset:424 ; 4-byte Folded Reload
	;; [unrolled: 1-line block ×4, first 2 shown]
	v_add_f64 v[20:21], v[32:33], v[20:21]
	buffer_load_dword v32, off, s[64:67], 0 offset:404 ; 4-byte Folded Reload
	buffer_load_dword v33, off, s[64:67], 0 offset:408 ; 4-byte Folded Reload
	v_add_f64 v[12:13], v[28:29], v[12:13]
	buffer_load_dword v28, off, s[64:67], 0 offset:476 ; 4-byte Folded Reload
	buffer_load_dword v29, off, s[64:67], 0 offset:480 ; 4-byte Folded Reload
	s_waitcnt vmcnt(8)
	v_add_f64 v[38:39], v[198:199], v[38:39]
	v_add_f64 v[26:27], v[38:39], v[26:27]
	s_waitcnt vmcnt(6)
	v_add_f64 v[30:31], v[232:233], v[30:31]
	s_waitcnt vmcnt(4)
	v_add_f64 v[2:3], v[34:35], -v[2:3]
	buffer_load_dword v34, off, s[64:67], 0 offset:444 ; 4-byte Folded Reload
	buffer_load_dword v35, off, s[64:67], 0 offset:448 ; 4-byte Folded Reload
	s_waitcnt vmcnt(4)
	v_add_f64 v[32:33], v[230:231], v[32:33]
	s_waitcnt vmcnt(2)
	v_add_f64 v[28:29], v[234:235], v[28:29]
	v_add_f64 v[30:31], v[30:31], v[12:13]
	;; [unrolled: 1-line block ×3, first 2 shown]
	buffer_load_dword v2, off, s[64:67], 0 offset:436 ; 4-byte Folded Reload
	buffer_load_dword v3, off, s[64:67], 0 offset:440 ; 4-byte Folded Reload
	v_add_f64 v[26:27], v[32:33], v[26:27]
	v_add_f64 v[12:13], v[18:19], v[156:157]
	;; [unrolled: 1-line block ×3, first 2 shown]
	s_waitcnt vmcnt(2)
	v_add_f64 v[34:35], v[34:35], -v[40:41]
	s_waitcnt vmcnt(0)
	v_add_f64 v[38:39], v[10:11], v[2:3]
	v_add_f64 v[10:11], v[34:35], v[20:21]
	buffer_load_dword v20, off, s[64:67], 0 ; 4-byte Folded Reload
	v_add_f64 v[2:3], v[16:17], v[4:5]
	v_add_f64 v[4:5], v[28:29], v[30:31]
	;; [unrolled: 1-line block ×4, first 2 shown]
	s_waitcnt vmcnt(0)
	v_mul_lo_u16_e32 v20, 17, v20
	v_lshlrev_b32_e32 v20, 4, v20
	ds_write_b128 v20, v[12:15]
	ds_write_b128 v20, v[8:11] offset:16
	ds_write_b128 v20, v[4:7] offset:32
	;; [unrolled: 1-line block ×5, first 2 shown]
	buffer_load_dword v0, off, s[64:67], 0 offset:708 ; 4-byte Folded Reload
	buffer_load_dword v1, off, s[64:67], 0 offset:712 ; 4-byte Folded Reload
	buffer_load_dword v2, off, s[64:67], 0 offset:716 ; 4-byte Folded Reload
	buffer_load_dword v3, off, s[64:67], 0 offset:720 ; 4-byte Folded Reload
	s_waitcnt vmcnt(0)
	ds_write_b128 v20, v[0:3] offset:96
	buffer_load_dword v0, off, s[64:67], 0 offset:676 ; 4-byte Folded Reload
	buffer_load_dword v1, off, s[64:67], 0 offset:680 ; 4-byte Folded Reload
	buffer_load_dword v2, off, s[64:67], 0 offset:684 ; 4-byte Folded Reload
	buffer_load_dword v3, off, s[64:67], 0 offset:688 ; 4-byte Folded Reload
	s_waitcnt vmcnt(0)
	ds_write_b128 v20, v[0:3] offset:112
	;; [unrolled: 6-line block ×7, first 2 shown]
	ds_write_b128 v20, v[188:191] offset:208
	ds_write_b128 v20, v[16:19] offset:224
	ds_write_b128 v20, v[224:227] offset:240
	ds_write_b128 v20, v[220:223] offset:256
.LBB0_17:
	s_or_b64 exec, exec, s[40:41]
	s_waitcnt lgkmcnt(0)
	s_barrier
	ds_read_b128 v[0:3], v70 offset:8160
	ds_read_b128 v[4:7], v70
	ds_read_b128 v[8:11], v70 offset:1632
	ds_read_b128 v[12:15], v70 offset:16320
	ds_read_b128 v[16:19], v70 offset:17952
	ds_read_b128 v[20:23], v70 offset:9792
	ds_read_b128 v[24:27], v70 offset:11424
	ds_read_b128 v[28:31], v70 offset:3264
	ds_read_b128 v[116:119], v70 offset:4896
	ds_read_b128 v[152:155], v70 offset:19584
	ds_read_b128 v[156:159], v70 offset:21216
	ds_read_b128 v[160:163], v70 offset:6528
	ds_read_b128 v[164:167], v70 offset:13056
	ds_read_b128 v[168:171], v70 offset:14688
	buffer_load_dword v48, off, s[64:67], 0 offset:44 ; 4-byte Folded Reload
	buffer_load_dword v49, off, s[64:67], 0 offset:48 ; 4-byte Folded Reload
	;; [unrolled: 1-line block ×4, first 2 shown]
	ds_read_b128 v[172:175], v70 offset:22848
	buffer_load_dword v44, off, s[64:67], 0 offset:28 ; 4-byte Folded Reload
	buffer_load_dword v45, off, s[64:67], 0 offset:32 ; 4-byte Folded Reload
	;; [unrolled: 1-line block ×4, first 2 shown]
	s_waitcnt lgkmcnt(14)
	v_mul_f64 v[32:33], v[58:59], v[2:3]
	v_mul_f64 v[34:35], v[58:59], v[0:1]
	s_waitcnt lgkmcnt(11)
	v_mul_f64 v[36:37], v[54:55], v[14:15]
	v_mul_f64 v[38:39], v[54:55], v[12:13]
	s_mov_b32 s10, 0xe8584caa
	s_mov_b32 s11, 0xbfebb67a
	;; [unrolled: 1-line block ×4, first 2 shown]
	v_fma_f64 v[32:33], v[56:57], v[0:1], v[32:33]
	v_fma_f64 v[2:3], v[56:57], v[2:3], -v[34:35]
	v_fma_f64 v[12:13], v[52:53], v[12:13], v[36:37]
	v_fma_f64 v[14:15], v[52:53], v[14:15], -v[38:39]
	s_waitcnt vmcnt(4) lgkmcnt(9)
	v_mul_f64 v[40:41], v[50:51], v[22:23]
	v_mul_f64 v[42:43], v[50:51], v[20:21]
	s_waitcnt vmcnt(0)
	v_mul_f64 v[0:1], v[46:47], v[18:19]
	v_mul_f64 v[34:35], v[46:47], v[16:17]
	buffer_load_dword v50, off, s[64:67], 0 offset:76 ; 4-byte Folded Reload
	buffer_load_dword v51, off, s[64:67], 0 offset:80 ; 4-byte Folded Reload
	;; [unrolled: 1-line block ×4, first 2 shown]
	v_fma_f64 v[20:21], v[48:49], v[20:21], v[40:41]
	v_fma_f64 v[22:23], v[48:49], v[22:23], -v[42:43]
	buffer_load_dword v46, off, s[64:67], 0 offset:60 ; 4-byte Folded Reload
	buffer_load_dword v47, off, s[64:67], 0 offset:64 ; 4-byte Folded Reload
	;; [unrolled: 1-line block ×8, first 2 shown]
	v_fma_f64 v[16:17], v[44:45], v[16:17], v[0:1]
	v_fma_f64 v[18:19], v[44:45], v[18:19], -v[34:35]
	s_waitcnt vmcnt(8) lgkmcnt(8)
	v_mul_f64 v[36:37], v[52:53], v[26:27]
	v_mul_f64 v[38:39], v[52:53], v[24:25]
	buffer_load_dword v52, off, s[64:67], 0 offset:92 ; 4-byte Folded Reload
	buffer_load_dword v53, off, s[64:67], 0 offset:96 ; 4-byte Folded Reload
	;; [unrolled: 1-line block ×8, first 2 shown]
	s_waitcnt vmcnt(12) lgkmcnt(5)
	v_mul_f64 v[0:1], v[48:49], v[154:155]
	v_mul_f64 v[40:41], v[48:49], v[152:153]
	s_waitcnt vmcnt(8) lgkmcnt(2)
	v_mul_f64 v[34:35], v[58:59], v[164:165]
	v_fma_f64 v[36:37], v[50:51], v[24:25], v[36:37]
	v_fma_f64 v[38:39], v[50:51], v[26:27], -v[38:39]
	v_mul_f64 v[42:43], v[58:59], v[166:167]
	v_fma_f64 v[44:45], v[46:47], v[152:153], v[0:1]
	v_fma_f64 v[46:47], v[46:47], v[154:155], -v[40:41]
	buffer_load_dword v152, off, s[64:67], 0 offset:124 ; 4-byte Folded Reload
	buffer_load_dword v153, off, s[64:67], 0 offset:128 ; 4-byte Folded Reload
	;; [unrolled: 1-line block ×4, first 2 shown]
	s_waitcnt vmcnt(0) lgkmcnt(0)
	s_barrier
	v_fma_f64 v[50:51], v[56:57], v[164:165], v[42:43]
	v_mul_f64 v[24:25], v[54:55], v[158:159]
	v_mul_f64 v[0:1], v[54:55], v[156:157]
	v_fma_f64 v[54:55], v[56:57], v[166:167], -v[34:35]
	v_mul_f64 v[26:27], v[66:67], v[170:171]
	v_add_f64 v[34:35], v[32:33], v[12:13]
	v_fma_f64 v[58:59], v[52:53], v[156:157], v[24:25]
	v_fma_f64 v[60:61], v[52:53], v[158:159], -v[0:1]
	v_add_f64 v[0:1], v[4:5], v[32:33]
	v_fma_f64 v[62:63], v[64:65], v[168:169], v[26:27]
	v_fma_f64 v[26:27], v[34:35], -0.5, v[4:5]
	v_add_f64 v[34:35], v[2:3], -v[14:15]
	v_mul_f64 v[40:41], v[154:155], v[174:175]
	v_mul_f64 v[24:25], v[66:67], v[168:169]
	;; [unrolled: 1-line block ×3, first 2 shown]
	v_add_f64 v[32:33], v[32:33], -v[12:13]
	v_add_f64 v[0:1], v[0:1], v[12:13]
	v_add_f64 v[74:75], v[54:55], -v[60:61]
	v_fma_f64 v[4:5], v[34:35], s[10:11], v[26:27]
	v_fma_f64 v[66:67], v[152:153], v[172:173], v[40:41]
	v_add_f64 v[40:41], v[20:21], v[16:17]
	v_fma_f64 v[12:13], v[34:35], s[8:9], v[26:27]
	v_add_f64 v[26:27], v[8:9], v[20:21]
	v_fma_f64 v[64:65], v[64:65], v[170:171], -v[24:25]
	v_fma_f64 v[71:72], v[152:153], v[174:175], -v[42:43]
	v_add_f64 v[24:25], v[2:3], v[14:15]
	v_add_f64 v[34:35], v[22:23], v[18:19]
	v_add_f64 v[42:43], v[22:23], -v[18:19]
	v_fma_f64 v[40:41], v[40:41], -0.5, v[8:9]
	v_add_f64 v[22:23], v[10:11], v[22:23]
	v_add_f64 v[8:9], v[26:27], v[16:17]
	;; [unrolled: 1-line block ×4, first 2 shown]
	v_fma_f64 v[24:25], v[24:25], -0.5, v[6:7]
	v_fma_f64 v[34:35], v[34:35], -0.5, v[10:11]
	v_add_f64 v[16:17], v[20:21], -v[16:17]
	v_add_f64 v[20:21], v[28:29], v[36:37]
	v_add_f64 v[10:11], v[22:23], v[18:19]
	v_add_f64 v[18:19], v[38:39], v[46:47]
	v_fma_f64 v[22:23], v[26:27], -0.5, v[28:29]
	v_add_f64 v[28:29], v[38:39], -v[46:47]
	v_add_f64 v[2:3], v[2:3], v[14:15]
	v_fma_f64 v[6:7], v[32:33], s[8:9], v[24:25]
	v_fma_f64 v[14:15], v[32:33], s[10:11], v[24:25]
	v_fma_f64 v[24:25], v[42:43], s[10:11], v[40:41]
	v_fma_f64 v[32:33], v[42:43], s[8:9], v[40:41]
	v_fma_f64 v[26:27], v[16:17], s[8:9], v[34:35]
	v_fma_f64 v[34:35], v[16:17], s[10:11], v[34:35]
	v_add_f64 v[16:17], v[30:31], v[38:39]
	v_fma_f64 v[18:19], v[18:19], -0.5, v[30:31]
	v_add_f64 v[30:31], v[36:37], -v[44:45]
	v_add_f64 v[36:37], v[20:21], v[44:45]
	v_fma_f64 v[40:41], v[28:29], s[10:11], v[22:23]
	v_fma_f64 v[44:45], v[28:29], s[8:9], v[22:23]
	v_add_f64 v[22:23], v[118:119], v[54:55]
	v_add_f64 v[42:43], v[50:51], v[58:59]
	;; [unrolled: 1-line block ×5, first 2 shown]
	v_add_f64 v[28:29], v[50:51], -v[58:59]
	v_fma_f64 v[46:47], v[30:31], s[10:11], v[18:19]
	v_add_f64 v[50:51], v[22:23], v[60:61]
	buffer_load_dword v60, off, s[64:67], 0 offset:156 ; 4-byte Folded Reload
	v_fma_f64 v[56:57], v[42:43], -0.5, v[116:117]
	v_fma_f64 v[42:43], v[30:31], s[8:9], v[18:19]
	v_fma_f64 v[16:17], v[16:17], -0.5, v[118:119]
	v_add_f64 v[48:49], v[20:21], v[58:59]
	v_add_f64 v[18:19], v[62:63], v[66:67]
	;; [unrolled: 1-line block ×4, first 2 shown]
	v_add_f64 v[62:63], v[62:63], -v[66:67]
	v_fma_f64 v[52:53], v[74:75], s[10:11], v[56:57]
	v_fma_f64 v[56:57], v[74:75], s[8:9], v[56:57]
	;; [unrolled: 1-line block ×4, first 2 shown]
	v_fma_f64 v[18:19], v[18:19], -0.5, v[160:161]
	v_add_f64 v[74:75], v[64:65], -v[71:72]
	v_add_f64 v[64:65], v[162:163], v[64:65]
	v_fma_f64 v[116:117], v[20:21], -0.5, v[162:163]
	v_add_f64 v[16:17], v[30:31], v[66:67]
	s_waitcnt vmcnt(0)
	ds_write_b128 v60, v[0:3]
	ds_write_b128 v60, v[4:7] offset:272
	ds_write_b128 v60, v[12:15] offset:544
	buffer_load_dword v0, off, s[64:67], 0 offset:160 ; 4-byte Folded Reload
	v_fma_f64 v[20:21], v[74:75], s[10:11], v[18:19]
	v_fma_f64 v[28:29], v[74:75], s[8:9], v[18:19]
	v_add_f64 v[18:19], v[64:65], v[71:72]
	v_fma_f64 v[22:23], v[62:63], s[8:9], v[116:117]
	v_fma_f64 v[30:31], v[62:63], s[10:11], v[116:117]
	s_waitcnt vmcnt(0)
	ds_write_b128 v0, v[8:11]
	ds_write_b128 v0, v[24:27] offset:272
	ds_write_b128 v0, v[32:35] offset:544
	buffer_load_dword v0, off, s[64:67], 0 offset:164 ; 4-byte Folded Reload
	s_waitcnt vmcnt(0)
	ds_write_b128 v0, v[36:39]
	ds_write_b128 v0, v[40:43] offset:272
	ds_write_b128 v0, v[44:47] offset:544
	buffer_load_dword v0, off, s[64:67], 0 offset:168 ; 4-byte Folded Reload
	;; [unrolled: 5-line block ×3, first 2 shown]
	s_waitcnt vmcnt(0)
	ds_write_b128 v0, v[16:19]
	ds_write_b128 v0, v[20:23] offset:272
	ds_write_b128 v0, v[28:31] offset:544
	s_waitcnt lgkmcnt(0)
	s_barrier
	ds_read_b128 v[40:43], v70
	ds_read_b128 v[32:35], v70 offset:1632
	ds_read_b128 v[164:167], v70 offset:4080
	;; [unrolled: 1-line block ×11, first 2 shown]
	s_and_saveexec_b64 s[16:17], s[2:3]
	s_cbranch_execz .LBB0_19
; %bb.18:
	ds_read_b128 v[16:19], v70 offset:3264
	ds_read_b128 v[20:23], v70 offset:7344
	ds_read_b128 v[28:31], v70 offset:11424
	ds_read_b128 v[224:227], v70 offset:15504
	ds_read_b128 v[220:223], v70 offset:19584
	ds_read_b128 v[0:3], v70 offset:23664
	s_waitcnt lgkmcnt(0)
	buffer_store_dword v0, off, s[64:67], 0 offset:12 ; 4-byte Folded Spill
	s_nop 0
	buffer_store_dword v1, off, s[64:67], 0 offset:16 ; 4-byte Folded Spill
	buffer_store_dword v2, off, s[64:67], 0 offset:20 ; 4-byte Folded Spill
	;; [unrolled: 1-line block ×3, first 2 shown]
.LBB0_19:
	s_or_b64 exec, exec, s[16:17]
	buffer_load_dword v12, off, s[64:67], 0 offset:224 ; 4-byte Folded Reload
	buffer_load_dword v13, off, s[64:67], 0 offset:228 ; 4-byte Folded Reload
	;; [unrolled: 1-line block ×12, first 2 shown]
	s_waitcnt lgkmcnt(6)
	v_mul_f64 v[66:67], v[94:95], v[52:53]
	s_waitcnt lgkmcnt(4)
	v_mul_f64 v[71:72], v[90:91], v[48:49]
	s_waitcnt vmcnt(8)
	v_mul_f64 v[0:1], v[14:15], v[166:167]
	v_mul_f64 v[2:3], v[14:15], v[164:165]
	s_waitcnt vmcnt(0)
	v_mul_f64 v[8:9], v[62:63], v[158:159]
	v_mul_f64 v[10:11], v[62:63], v[156:157]
	buffer_load_dword v62, off, s[64:67], 0 offset:172 ; 4-byte Folded Reload
	buffer_load_dword v63, off, s[64:67], 0 offset:176 ; 4-byte Folded Reload
	;; [unrolled: 1-line block ×8, first 2 shown]
	v_mul_f64 v[4:5], v[26:27], v[162:163]
	v_mul_f64 v[6:7], v[26:27], v[160:161]
	v_fma_f64 v[0:1], v[12:13], v[164:165], v[0:1]
	v_fma_f64 v[2:3], v[12:13], v[166:167], -v[2:3]
	s_waitcnt lgkmcnt(1)
	v_mul_f64 v[26:27], v[78:79], v[116:117]
	v_fma_f64 v[8:9], v[60:61], v[156:157], v[8:9]
	v_fma_f64 v[10:11], v[60:61], v[158:159], -v[10:11]
	v_mul_f64 v[60:61], v[98:99], v[58:59]
	v_fma_f64 v[4:5], v[24:25], v[160:161], v[4:5]
	v_fma_f64 v[6:7], v[24:25], v[162:163], -v[6:7]
	v_mul_f64 v[24:25], v[78:79], v[118:119]
	s_waitcnt lgkmcnt(0)
	v_fma_f64 v[26:27], v[76:77], v[118:119], -v[26:27]
	s_waitcnt vmcnt(0)
	s_barrier
	v_fma_f64 v[24:25], v[76:77], v[116:117], v[24:25]
	v_add_f64 v[74:75], v[8:9], -v[24:25]
	v_mul_f64 v[12:13], v[64:65], v[154:155]
	v_mul_f64 v[14:15], v[64:65], v[152:153]
	;; [unrolled: 1-line block ×3, first 2 shown]
	v_fma_f64 v[54:55], v[92:93], v[54:55], -v[66:67]
	v_fma_f64 v[12:13], v[62:63], v[152:153], v[12:13]
	v_fma_f64 v[14:15], v[62:63], v[154:155], -v[14:15]
	v_mul_f64 v[62:63], v[98:99], v[56:57]
	v_fma_f64 v[56:57], v[96:97], v[56:57], v[60:61]
	v_mul_f64 v[60:61], v[90:91], v[50:51]
	v_fma_f64 v[52:53], v[92:93], v[52:53], v[64:65]
	v_mul_f64 v[64:65], v[86:87], v[44:45]
	v_fma_f64 v[50:51], v[88:89], v[50:51], -v[71:72]
	v_add_f64 v[66:67], v[4:5], v[12:13]
	v_add_f64 v[71:72], v[10:11], v[26:27]
	v_fma_f64 v[58:59], v[96:97], v[58:59], -v[62:63]
	v_mul_f64 v[62:63], v[86:87], v[46:47]
	v_fma_f64 v[48:49], v[88:89], v[48:49], v[60:61]
	v_mul_f64 v[60:61], v[82:83], v[38:39]
	v_fma_f64 v[46:47], v[84:85], v[46:47], -v[64:65]
	v_add_f64 v[64:65], v[6:7], -v[14:15]
	v_add_f64 v[76:77], v[6:7], v[14:15]
	v_fma_f64 v[71:72], v[71:72], -0.5, v[2:3]
	v_add_f64 v[6:7], v[42:43], v[6:7]
	v_fma_f64 v[44:45], v[84:85], v[44:45], v[62:63]
	v_add_f64 v[62:63], v[40:41], v[4:5]
	v_fma_f64 v[40:41], v[66:67], -0.5, v[40:41]
	v_add_f64 v[66:67], v[8:9], v[24:25]
	v_fma_f64 v[60:61], v[80:81], v[36:37], v[60:61]
	v_mul_f64 v[36:37], v[82:83], v[36:37]
	v_add_f64 v[82:83], v[10:11], -v[26:27]
	v_add_f64 v[4:5], v[4:5], -v[12:13]
	v_add_f64 v[2:3], v[2:3], v[10:11]
	v_add_f64 v[62:63], v[62:63], v[12:13]
	v_fma_f64 v[78:79], v[64:65], s[10:11], v[40:41]
	v_fma_f64 v[66:67], v[66:67], -0.5, v[0:1]
	v_fma_f64 v[40:41], v[64:65], s[8:9], v[40:41]
	v_fma_f64 v[64:65], v[74:75], s[8:9], v[71:72]
	v_fma_f64 v[71:72], v[74:75], s[10:11], v[71:72]
	v_add_f64 v[0:1], v[0:1], v[8:9]
	v_fma_f64 v[38:39], v[80:81], v[38:39], -v[36:37]
	v_fma_f64 v[42:43], v[76:77], -0.5, v[42:43]
	v_add_f64 v[14:15], v[6:7], v[14:15]
	v_fma_f64 v[8:9], v[82:83], s[10:11], v[66:67]
	v_fma_f64 v[12:13], v[82:83], s[8:9], v[66:67]
	v_mul_f64 v[66:67], v[64:65], s[10:11]
	v_mul_f64 v[74:75], v[71:72], s[10:11]
	v_mul_f64 v[10:11], v[71:72], -0.5
	v_add_f64 v[24:25], v[0:1], v[24:25]
	v_mul_f64 v[6:7], v[64:65], 0.5
	v_add_f64 v[26:27], v[2:3], v[26:27]
	v_add_f64 v[80:81], v[52:53], v[44:45]
	v_fma_f64 v[64:65], v[4:5], s[8:9], v[42:43]
	v_fma_f64 v[66:67], v[8:9], 0.5, v[66:67]
	v_fma_f64 v[71:72], v[12:13], -0.5, v[74:75]
	v_fma_f64 v[76:77], v[12:13], s[8:9], v[10:11]
	v_add_f64 v[0:1], v[62:63], v[24:25]
	v_add_f64 v[12:13], v[62:63], -v[24:25]
	v_add_f64 v[62:63], v[50:51], v[38:39]
	v_fma_f64 v[42:43], v[4:5], s[10:11], v[42:43]
	v_fma_f64 v[74:75], v[8:9], s[8:9], v[6:7]
	v_add_f64 v[4:5], v[78:79], v[66:67]
	v_add_f64 v[8:9], v[40:41], v[71:72]
	;; [unrolled: 1-line block ×3, first 2 shown]
	v_add_f64 v[24:25], v[78:79], -v[66:67]
	v_add_f64 v[66:67], v[32:33], v[52:53]
	v_add_f64 v[36:37], v[40:41], -v[71:72]
	v_fma_f64 v[32:33], v[80:81], -0.5, v[32:33]
	v_add_f64 v[40:41], v[54:55], -v[46:47]
	v_add_f64 v[71:72], v[48:49], v[60:61]
	v_add_f64 v[14:15], v[14:15], -v[26:27]
	v_fma_f64 v[26:27], v[62:63], -0.5, v[58:59]
	v_add_f64 v[62:63], v[48:49], -v[60:61]
	v_add_f64 v[78:79], v[34:35], v[54:55]
	v_add_f64 v[54:55], v[54:55], v[46:47]
	v_add_f64 v[82:83], v[50:51], -v[38:39]
	v_fma_f64 v[80:81], v[40:41], s[10:11], v[32:33]
	v_fma_f64 v[71:72], v[71:72], -0.5, v[56:57]
	v_fma_f64 v[84:85], v[40:41], s[8:9], v[32:33]
	v_add_f64 v[66:67], v[66:67], v[44:45]
	v_fma_f64 v[32:33], v[62:63], s[8:9], v[26:27]
	v_fma_f64 v[26:27], v[62:63], s[10:11], v[26:27]
	v_add_f64 v[40:41], v[52:53], -v[44:45]
	v_add_f64 v[44:45], v[56:57], v[48:49]
	v_add_f64 v[50:51], v[58:59], v[50:51]
	;; [unrolled: 1-line block ×3, first 2 shown]
	v_fma_f64 v[34:35], v[54:55], -0.5, v[34:35]
	v_fma_f64 v[46:47], v[82:83], s[10:11], v[71:72]
	v_mul_f64 v[52:53], v[32:33], s[10:11]
	v_mul_f64 v[32:33], v[32:33], 0.5
	v_fma_f64 v[48:49], v[82:83], s[8:9], v[71:72]
	v_mul_f64 v[54:55], v[26:27], s[10:11]
	v_mul_f64 v[26:27], v[26:27], -0.5
	v_add_f64 v[56:57], v[44:45], v[60:61]
	v_add_f64 v[50:51], v[50:51], v[38:39]
	v_fma_f64 v[58:59], v[40:41], s[8:9], v[34:35]
	v_fma_f64 v[52:53], v[46:47], 0.5, v[52:53]
	v_fma_f64 v[60:61], v[46:47], s[8:9], v[32:33]
	v_fma_f64 v[71:72], v[40:41], s[10:11], v[34:35]
	v_fma_f64 v[54:55], v[48:49], -0.5, v[54:55]
	v_fma_f64 v[78:79], v[48:49], s[8:9], v[26:27]
	v_add_f64 v[6:7], v[64:65], v[74:75]
	v_add_f64 v[10:11], v[42:43], v[76:77]
	v_add_f64 v[26:27], v[64:65], -v[74:75]
	v_add_f64 v[38:39], v[42:43], -v[76:77]
	v_add_f64 v[32:33], v[66:67], v[56:57]
	v_add_f64 v[34:35], v[62:63], v[50:51]
	;; [unrolled: 1-line block ×6, first 2 shown]
	v_add_f64 v[48:49], v[66:67], -v[56:57]
	v_add_f64 v[52:53], v[80:81], -v[52:53]
	;; [unrolled: 1-line block ×6, first 2 shown]
	ds_write_b128 v73, v[0:3]
	ds_write_b128 v73, v[4:7] offset:816
	ds_write_b128 v73, v[8:11] offset:1632
	ds_write_b128 v73, v[12:15] offset:2448
	ds_write_b128 v73, v[24:27] offset:3264
	ds_write_b128 v73, v[36:39] offset:4080
	ds_write_b128 v69, v[32:35]
	ds_write_b128 v69, v[40:43] offset:816
	ds_write_b128 v69, v[44:47] offset:1632
	;; [unrolled: 1-line block ×5, first 2 shown]
	s_and_saveexec_b64 s[8:9], s[2:3]
	s_cbranch_execz .LBB0_21
; %bb.20:
	buffer_load_dword v44, off, s[64:67], 0 offset:308 ; 4-byte Folded Reload
	buffer_load_dword v45, off, s[64:67], 0 offset:312 ; 4-byte Folded Reload
	;; [unrolled: 1-line block ×24, first 2 shown]
	s_mov_b32 s2, 0xe8584caa
	s_mov_b32 s3, 0xbfebb67a
	;; [unrolled: 1-line block ×4, first 2 shown]
	s_waitcnt vmcnt(20)
	v_mul_f64 v[0:1], v[46:47], v[224:225]
	s_waitcnt vmcnt(14)
	v_mul_f64 v[2:3], v[50:51], v[52:53]
	v_mul_f64 v[6:7], v[46:47], v[226:227]
	s_waitcnt vmcnt(12)
	v_mul_f64 v[8:9], v[50:51], v[54:55]
	s_waitcnt vmcnt(4)
	v_mul_f64 v[10:11], v[38:39], v[20:21]
	v_mul_f64 v[4:5], v[34:35], v[28:29]
	s_waitcnt vmcnt(0)
	v_mul_f64 v[12:13], v[42:43], v[220:221]
	v_mul_f64 v[14:15], v[34:35], v[30:31]
	v_fma_f64 v[0:1], v[44:45], v[226:227], -v[0:1]
	v_fma_f64 v[2:3], v[48:49], v[54:55], -v[2:3]
	v_mul_f64 v[24:25], v[42:43], v[222:223]
	v_mul_f64 v[26:27], v[38:39], v[22:23]
	v_fma_f64 v[6:7], v[44:45], v[224:225], v[6:7]
	v_fma_f64 v[8:9], v[48:49], v[52:53], v[8:9]
	v_fma_f64 v[10:11], v[36:37], v[22:23], -v[10:11]
	v_fma_f64 v[4:5], v[32:33], v[30:31], -v[4:5]
	;; [unrolled: 1-line block ×3, first 2 shown]
	v_add_f64 v[22:23], v[0:1], v[2:3]
	v_fma_f64 v[14:15], v[32:33], v[28:29], v[14:15]
	v_fma_f64 v[24:25], v[40:41], v[220:221], v[24:25]
	v_fma_f64 v[20:21], v[36:37], v[20:21], v[26:27]
	v_add_f64 v[26:27], v[6:7], v[8:9]
	v_add_f64 v[28:29], v[6:7], -v[8:9]
	v_add_f64 v[34:35], v[0:1], -v[2:3]
	v_add_f64 v[30:31], v[4:5], v[12:13]
	v_fma_f64 v[22:23], v[22:23], -0.5, v[10:11]
	v_add_f64 v[0:1], v[10:11], v[0:1]
	v_add_f64 v[32:33], v[14:15], -v[24:25]
	v_add_f64 v[10:11], v[14:15], v[24:25]
	v_fma_f64 v[26:27], v[26:27], -0.5, v[20:21]
	v_add_f64 v[14:15], v[16:17], v[14:15]
	v_add_f64 v[6:7], v[20:21], v[6:7]
	;; [unrolled: 1-line block ×3, first 2 shown]
	v_fma_f64 v[36:37], v[28:29], s[2:3], v[22:23]
	v_fma_f64 v[22:23], v[28:29], s[10:11], v[22:23]
	v_fma_f64 v[18:19], v[30:31], -0.5, v[18:19]
	v_fma_f64 v[10:11], v[10:11], -0.5, v[16:17]
	v_fma_f64 v[28:29], v[34:35], s[10:11], v[26:27]
	v_fma_f64 v[20:21], v[34:35], s[2:3], v[26:27]
	v_add_f64 v[24:25], v[14:15], v[24:25]
	v_add_f64 v[8:9], v[6:7], v[8:9]
	v_mul_f64 v[30:31], v[36:37], -0.5
	v_mul_f64 v[26:27], v[22:23], 0.5
	v_mul_f64 v[22:23], v[22:23], s[2:3]
	v_fma_f64 v[16:17], v[32:33], s[2:3], v[18:19]
	v_fma_f64 v[18:19], v[32:33], s[10:11], v[18:19]
	v_mul_f64 v[32:33], v[36:37], s[2:3]
	v_add_f64 v[4:5], v[4:5], -v[12:13]
	v_add_f64 v[12:13], v[38:39], v[12:13]
	v_add_f64 v[0:1], v[0:1], v[2:3]
	v_fma_f64 v[26:27], v[20:21], s[10:11], v[26:27]
	v_fma_f64 v[36:37], v[20:21], 0.5, v[22:23]
	v_add_f64 v[20:21], v[24:25], v[8:9]
	v_add_f64 v[8:9], v[24:25], -v[8:9]
	buffer_load_dword v24, off, s[64:67], 0 offset:240 ; 4-byte Folded Reload
	v_fma_f64 v[30:31], v[28:29], s[10:11], v[30:31]
	v_fma_f64 v[34:35], v[4:5], s[10:11], v[10:11]
	;; [unrolled: 1-line block ×3, first 2 shown]
	v_fma_f64 v[28:29], v[28:29], -0.5, v[32:33]
	v_add_f64 v[22:23], v[12:13], v[0:1]
	v_add_f64 v[6:7], v[18:19], -v[26:27]
	v_add_f64 v[18:19], v[18:19], v[26:27]
	v_add_f64 v[10:11], v[12:13], -v[0:1]
	v_add_f64 v[2:3], v[16:17], -v[30:31]
	v_add_f64 v[14:15], v[16:17], v[30:31]
	v_add_f64 v[16:17], v[4:5], v[36:37]
	;; [unrolled: 1-line block ×3, first 2 shown]
	v_add_f64 v[4:5], v[4:5], -v[36:37]
	v_add_f64 v[0:1], v[34:35], -v[28:29]
	s_waitcnt vmcnt(0)
	ds_write_b128 v24, v[20:23] offset:19584
	ds_write_b128 v24, v[16:19] offset:20400
	;; [unrolled: 1-line block ×6, first 2 shown]
.LBB0_21:
	s_or_b64 exec, exec, s[8:9]
	s_waitcnt lgkmcnt(0)
	s_barrier
	ds_read_b128 v[0:3], v70
	ds_read_b128 v[4:7], v70 offset:1632
	ds_read_b128 v[8:11], v70 offset:9792
	;; [unrolled: 1-line block ×11, first 2 shown]
	s_waitcnt lgkmcnt(5)
	v_mul_f64 v[60:61], v[106:107], v[26:27]
	v_mul_f64 v[62:63], v[106:107], v[24:25]
	;; [unrolled: 1-line block ×4, first 2 shown]
	s_waitcnt lgkmcnt(1)
	v_mul_f64 v[71:72], v[110:111], v[42:43]
	v_mul_f64 v[73:74], v[110:111], v[40:41]
	ds_read_b128 v[48:51], v70 offset:16320
	ds_read_b128 v[52:55], v70 offset:17952
	ds_read_b128 v[56:59], v70 offset:22848
	v_mul_f64 v[75:76], v[102:103], v[16:17]
	v_fma_f64 v[24:25], v[104:105], v[24:25], v[60:61]
	v_mul_f64 v[60:61], v[102:103], v[18:19]
	v_fma_f64 v[26:27], v[104:105], v[26:27], -v[62:63]
	v_fma_f64 v[62:63], v[112:113], v[8:9], v[64:65]
	v_mul_f64 v[8:9], v[130:131], v[34:35]
	v_fma_f64 v[64:65], v[112:113], v[10:11], -v[66:67]
	v_fma_f64 v[10:11], v[108:109], v[40:41], v[71:72]
	v_fma_f64 v[40:41], v[108:109], v[42:43], -v[73:74]
	v_mul_f64 v[42:43], v[130:131], v[32:33]
	v_fma_f64 v[16:17], v[100:101], v[16:17], v[60:61]
	v_mul_f64 v[60:61], v[134:135], v[14:15]
	v_mul_f64 v[66:67], v[134:135], v[12:13]
	s_waitcnt lgkmcnt(2)
	v_mul_f64 v[73:74], v[126:127], v[48:49]
	v_fma_f64 v[32:33], v[128:129], v[32:33], v[8:9]
	v_mul_f64 v[8:9], v[122:123], v[22:23]
	v_fma_f64 v[18:19], v[100:101], v[18:19], -v[75:76]
	v_mul_f64 v[71:72], v[126:127], v[50:51]
	v_mul_f64 v[75:76], v[122:123], v[20:21]
	v_fma_f64 v[34:35], v[128:129], v[34:35], -v[42:43]
	v_fma_f64 v[42:43], v[132:133], v[12:13], v[60:61]
	v_fma_f64 v[60:61], v[132:133], v[14:15], -v[66:67]
	v_fma_f64 v[50:51], v[124:125], v[50:51], -v[73:74]
	v_mul_f64 v[12:13], v[146:147], v[38:39]
	v_fma_f64 v[66:67], v[120:121], v[20:21], v[8:9]
	v_mul_f64 v[8:9], v[146:147], v[36:37]
	v_mul_f64 v[14:15], v[150:151], v[46:47]
	v_add_f64 v[20:21], v[0:1], v[24:25]
	v_add_f64 v[73:74], v[62:63], v[10:11]
	v_fma_f64 v[48:49], v[124:125], v[48:49], v[71:72]
	v_fma_f64 v[71:72], v[120:121], v[22:23], -v[75:76]
	v_fma_f64 v[75:76], v[144:145], v[36:37], v[12:13]
	s_waitcnt lgkmcnt(1)
	v_mul_f64 v[12:13], v[142:143], v[54:55]
	v_mul_f64 v[36:37], v[142:143], v[52:53]
	v_fma_f64 v[77:78], v[144:145], v[38:39], -v[8:9]
	v_fma_f64 v[79:80], v[148:149], v[44:45], v[14:15]
	v_add_f64 v[8:9], v[20:21], v[62:63]
	v_fma_f64 v[14:15], v[73:74], -0.5, v[0:1]
	v_add_f64 v[20:21], v[26:27], -v[18:19]
	s_mov_b32 s2, 0x134454ff
	s_mov_b32 s3, 0xbfee6f0e
	v_mul_f64 v[22:23], v[150:151], v[44:45]
	v_fma_f64 v[52:53], v[140:141], v[52:53], v[12:13]
	v_fma_f64 v[54:55], v[140:141], v[54:55], -v[36:37]
	s_waitcnt lgkmcnt(0)
	v_mul_f64 v[12:13], v[138:139], v[58:59]
	v_add_f64 v[38:39], v[64:65], -v[40:41]
	v_fma_f64 v[36:37], v[20:21], s[2:3], v[14:15]
	v_add_f64 v[44:45], v[24:25], v[16:17]
	s_mov_b32 s8, 0x4755a5e
	s_mov_b32 s9, 0xbfe2cf23
	v_fma_f64 v[46:47], v[148:149], v[46:47], -v[22:23]
	v_mul_f64 v[22:23], v[138:139], v[56:57]
	v_add_f64 v[73:74], v[24:25], -v[62:63]
	v_add_f64 v[81:82], v[16:17], -v[10:11]
	v_fma_f64 v[56:57], v[136:137], v[56:57], v[12:13]
	v_fma_f64 v[0:1], v[44:45], -0.5, v[0:1]
	v_fma_f64 v[12:13], v[38:39], s[8:9], v[36:37]
	v_add_f64 v[36:37], v[2:3], v[26:27]
	s_mov_b32 s11, 0x3fee6f0e
	s_mov_b32 s10, s2
	v_add_f64 v[8:9], v[8:9], v[10:11]
	v_fma_f64 v[58:59], v[136:137], v[58:59], -v[22:23]
	v_add_f64 v[22:23], v[73:74], v[81:82]
	v_add_f64 v[44:45], v[64:65], v[40:41]
	v_fma_f64 v[14:15], v[20:21], s[10:11], v[14:15]
	v_fma_f64 v[73:74], v[38:39], s[10:11], v[0:1]
	v_add_f64 v[81:82], v[62:63], -v[24:25]
	v_add_f64 v[83:84], v[10:11], -v[16:17]
	v_fma_f64 v[0:1], v[38:39], s[2:3], v[0:1]
	v_add_f64 v[36:37], v[36:37], v[64:65]
	s_mov_b32 s17, 0x3fe2cf23
	s_mov_b32 s16, s8
	v_add_f64 v[8:9], v[8:9], v[16:17]
	v_fma_f64 v[44:45], v[44:45], -0.5, v[2:3]
	v_add_f64 v[24:25], v[24:25], -v[16:17]
	v_fma_f64 v[14:15], v[38:39], s[16:17], v[14:15]
	v_fma_f64 v[16:17], v[20:21], s[8:9], v[73:74]
	v_add_f64 v[38:39], v[81:82], v[83:84]
	v_fma_f64 v[20:21], v[20:21], s[16:17], v[0:1]
	v_add_f64 v[36:37], v[36:37], v[40:41]
	v_add_f64 v[81:82], v[26:27], v[18:19]
	s_mov_b32 s18, 0x372fe950
	s_mov_b32 s19, 0x3fd3c6ef
	v_fma_f64 v[73:74], v[24:25], s[10:11], v[44:45]
	v_add_f64 v[62:63], v[62:63], -v[10:11]
	v_fma_f64 v[0:1], v[22:23], s[18:19], v[12:13]
	v_fma_f64 v[12:13], v[22:23], s[18:19], v[14:15]
	v_fma_f64 v[16:17], v[38:39], s[18:19], v[16:17]
	v_fma_f64 v[20:21], v[38:39], s[18:19], v[20:21]
	v_fma_f64 v[2:3], v[81:82], -0.5, v[2:3]
	v_add_f64 v[10:11], v[36:37], v[18:19]
	v_add_f64 v[22:23], v[26:27], -v[64:65]
	v_add_f64 v[36:37], v[18:19], -v[40:41]
	v_add_f64 v[38:39], v[4:5], v[32:33]
	v_fma_f64 v[14:15], v[62:63], s[16:17], v[73:74]
	v_fma_f64 v[44:45], v[24:25], s[2:3], v[44:45]
	v_add_f64 v[73:74], v[42:43], v[48:49]
	v_fma_f64 v[81:82], v[62:63], s[2:3], v[2:3]
	v_add_f64 v[26:27], v[64:65], -v[26:27]
	v_add_f64 v[18:19], v[40:41], -v[18:19]
	v_fma_f64 v[2:3], v[62:63], s[10:11], v[2:3]
	v_add_f64 v[22:23], v[22:23], v[36:37]
	v_add_f64 v[36:37], v[38:39], v[42:43]
	v_fma_f64 v[38:39], v[62:63], s[8:9], v[44:45]
	v_fma_f64 v[40:41], v[73:74], -0.5, v[4:5]
	v_add_f64 v[44:45], v[34:35], -v[71:72]
	v_fma_f64 v[62:63], v[24:25], s[16:17], v[81:82]
	v_add_f64 v[26:27], v[26:27], v[18:19]
	v_fma_f64 v[24:25], v[24:25], s[8:9], v[2:3]
	v_add_f64 v[64:65], v[32:33], v[66:67]
	v_add_f64 v[36:37], v[36:37], v[48:49]
	v_fma_f64 v[2:3], v[22:23], s[18:19], v[14:15]
	v_fma_f64 v[14:15], v[22:23], s[18:19], v[38:39]
	;; [unrolled: 1-line block ×3, first 2 shown]
	v_add_f64 v[73:74], v[60:61], -v[50:51]
	v_fma_f64 v[18:19], v[26:27], s[18:19], v[62:63]
	v_fma_f64 v[22:23], v[26:27], s[18:19], v[24:25]
	v_fma_f64 v[24:25], v[64:65], -0.5, v[4:5]
	v_add_f64 v[4:5], v[36:37], v[66:67]
	v_add_f64 v[26:27], v[32:33], -v[42:43]
	v_add_f64 v[36:37], v[66:67], -v[48:49]
	v_fma_f64 v[40:41], v[44:45], s[10:11], v[40:41]
	v_fma_f64 v[38:39], v[73:74], s[8:9], v[38:39]
	v_add_f64 v[83:84], v[42:43], -v[32:33]
	v_add_f64 v[85:86], v[48:49], -v[66:67]
	v_fma_f64 v[81:82], v[73:74], s[10:11], v[24:25]
	v_add_f64 v[62:63], v[6:7], v[34:35]
	v_add_f64 v[64:65], v[60:61], v[50:51]
	;; [unrolled: 1-line block ×3, first 2 shown]
	v_fma_f64 v[36:37], v[73:74], s[16:17], v[40:41]
	v_fma_f64 v[40:41], v[73:74], s[2:3], v[24:25]
	v_add_f64 v[66:67], v[32:33], -v[66:67]
	v_add_f64 v[42:43], v[42:43], -v[48:49]
	v_fma_f64 v[73:74], v[44:45], s[8:9], v[81:82]
	v_add_f64 v[81:82], v[83:84], v[85:86]
	v_add_f64 v[62:63], v[62:63], v[60:61]
	v_fma_f64 v[24:25], v[26:27], s[18:19], v[38:39]
	v_fma_f64 v[32:33], v[26:27], s[18:19], v[36:37]
	v_fma_f64 v[26:27], v[44:45], s[16:17], v[40:41]
	v_add_f64 v[44:45], v[34:35], v[71:72]
	v_fma_f64 v[64:65], v[64:65], -0.5, v[6:7]
	v_add_f64 v[48:49], v[79:80], v[52:53]
	v_fma_f64 v[36:37], v[81:82], s[18:19], v[73:74]
	v_add_f64 v[38:39], v[62:63], v[50:51]
	v_add_f64 v[73:74], v[34:35], -v[60:61]
	v_add_f64 v[83:84], v[71:72], -v[50:51]
	v_fma_f64 v[40:41], v[81:82], s[18:19], v[26:27]
	v_fma_f64 v[26:27], v[44:45], -0.5, v[6:7]
	v_fma_f64 v[62:63], v[66:67], s[10:11], v[64:65]
	v_add_f64 v[44:45], v[28:29], v[75:76]
	v_fma_f64 v[64:65], v[66:67], s[2:3], v[64:65]
	v_add_f64 v[34:35], v[60:61], -v[34:35]
	v_add_f64 v[50:51], v[50:51], -v[71:72]
	v_add_f64 v[6:7], v[38:39], v[71:72]
	v_fma_f64 v[48:49], v[48:49], -0.5, v[28:29]
	v_fma_f64 v[81:82], v[42:43], s[2:3], v[26:27]
	v_fma_f64 v[26:27], v[42:43], s[10:11], v[26:27]
	;; [unrolled: 1-line block ×3, first 2 shown]
	v_add_f64 v[62:63], v[77:78], -v[58:59]
	v_add_f64 v[73:74], v[73:74], v[83:84]
	v_add_f64 v[44:45], v[44:45], v[79:80]
	v_fma_f64 v[42:43], v[42:43], s[8:9], v[64:65]
	v_add_f64 v[50:51], v[34:35], v[50:51]
	v_fma_f64 v[81:82], v[66:67], s[16:17], v[81:82]
	v_fma_f64 v[66:67], v[66:67], s[8:9], v[26:27]
	v_add_f64 v[71:72], v[46:47], -v[54:55]
	v_fma_f64 v[60:61], v[62:63], s[2:3], v[48:49]
	v_add_f64 v[83:84], v[75:76], -v[79:80]
	v_add_f64 v[85:86], v[56:57], -v[52:53]
	v_add_f64 v[64:65], v[75:76], v[56:57]
	v_add_f64 v[44:45], v[44:45], v[52:53]
	v_fma_f64 v[26:27], v[73:74], s[18:19], v[38:39]
	v_fma_f64 v[34:35], v[73:74], s[18:19], v[42:43]
	;; [unrolled: 1-line block ×4, first 2 shown]
	v_add_f64 v[50:51], v[46:47], v[54:55]
	v_add_f64 v[73:74], v[77:78], v[58:59]
	v_fma_f64 v[60:61], v[71:72], s[8:9], v[60:61]
	v_add_f64 v[83:84], v[83:84], v[85:86]
	v_fma_f64 v[64:65], v[64:65], -0.5, v[28:29]
	v_add_f64 v[28:29], v[44:45], v[56:57]
	v_fma_f64 v[48:49], v[62:63], s[10:11], v[48:49]
	v_add_f64 v[66:67], v[79:80], -v[75:76]
	v_add_f64 v[81:82], v[52:53], -v[56:57]
	v_add_f64 v[85:86], v[30:31], v[77:78]
	v_fma_f64 v[50:51], v[50:51], -0.5, v[30:31]
	v_add_f64 v[56:57], v[75:76], -v[56:57]
	v_add_f64 v[52:53], v[79:80], -v[52:53]
	v_fma_f64 v[30:31], v[73:74], -0.5, v[30:31]
	v_fma_f64 v[44:45], v[83:84], s[18:19], v[60:61]
	v_fma_f64 v[60:61], v[71:72], s[10:11], v[64:65]
	;; [unrolled: 1-line block ×3, first 2 shown]
	v_add_f64 v[66:67], v[66:67], v[81:82]
	v_fma_f64 v[64:65], v[71:72], s[2:3], v[64:65]
	v_add_f64 v[71:72], v[85:86], v[46:47]
	v_fma_f64 v[73:74], v[56:57], s[10:11], v[50:51]
	v_add_f64 v[75:76], v[77:78], -v[46:47]
	v_add_f64 v[79:80], v[58:59], -v[54:55]
	v_fma_f64 v[50:51], v[56:57], s[2:3], v[50:51]
	v_fma_f64 v[81:82], v[52:53], s[2:3], v[30:31]
	v_add_f64 v[46:47], v[46:47], -v[77:78]
	v_add_f64 v[77:78], v[54:55], -v[58:59]
	v_fma_f64 v[30:31], v[52:53], s[10:11], v[30:31]
	v_fma_f64 v[60:61], v[62:63], s[8:9], v[60:61]
	;; [unrolled: 1-line block ×3, first 2 shown]
	v_add_f64 v[54:55], v[71:72], v[54:55]
	v_fma_f64 v[64:65], v[52:53], s[16:17], v[73:74]
	v_add_f64 v[71:72], v[75:76], v[79:80]
	v_fma_f64 v[50:51], v[52:53], s[8:9], v[50:51]
	v_fma_f64 v[73:74], v[56:57], s[16:17], v[81:82]
	v_add_f64 v[75:76], v[46:47], v[77:78]
	v_fma_f64 v[77:78], v[56:57], s[8:9], v[30:31]
	v_fma_f64 v[48:49], v[83:84], s[18:19], v[48:49]
	;; [unrolled: 1-line block ×4, first 2 shown]
	v_add_f64 v[30:31], v[54:55], v[58:59]
	v_fma_f64 v[46:47], v[71:72], s[18:19], v[64:65]
	v_fma_f64 v[50:51], v[71:72], s[18:19], v[50:51]
	;; [unrolled: 1-line block ×4, first 2 shown]
	ds_write_b128 v70, v[8:11]
	ds_write_b128 v70, v[0:3] offset:4896
	ds_write_b128 v70, v[16:19] offset:9792
	;; [unrolled: 1-line block ×14, first 2 shown]
	s_waitcnt lgkmcnt(0)
	s_barrier
	s_and_b64 exec, exec, s[0:1]
	s_cbranch_execz .LBB0_23
; %bb.22:
	global_load_dwordx4 v[0:3], v68, s[12:13]
	buffer_load_dword v22, off, s[64:67], 0 offset:4 ; 4-byte Folded Reload
	buffer_load_dword v23, off, s[64:67], 0 offset:8 ; 4-byte Folded Reload
	buffer_load_dword v24, off, s[64:67], 0 ; 4-byte Folded Reload
	ds_read_b128 v[4:7], v70
	ds_read_b128 v[8:11], v68 offset:1440
	ds_read_b128 v[16:19], v68 offset:23040
	s_mul_i32 s3, s5, 0x5a0
	s_mul_i32 s2, s4, 0x5a0
	s_waitcnt vmcnt(3) lgkmcnt(2)
	v_mul_f64 v[20:21], v[6:7], v[2:3]
	v_mul_f64 v[2:3], v[4:5], v[2:3]
	s_waitcnt vmcnt(2)
	v_mad_u64_u32 v[12:13], s[0:1], s6, v22, 0
	s_waitcnt vmcnt(0)
	v_mad_u64_u32 v[14:15], s[0:1], s4, v24, 0
	v_mad_u64_u32 v[22:23], s[0:1], s7, v22, v[13:14]
	v_fma_f64 v[4:5], v[4:5], v[0:1], v[20:21]
	v_fma_f64 v[2:3], v[0:1], v[6:7], -v[2:3]
	s_waitcnt lgkmcnt(0)
	v_mad_u64_u32 v[23:24], s[0:1], s5, v24, v[15:16]
	s_mov_b32 s0, 0x156ac015
	s_mov_b32 s1, 0x3f456ac0
	v_mov_b32_e32 v13, v22
	v_lshlrev_b64 v[6:7], 4, v[12:13]
	v_mul_f64 v[0:1], v[4:5], s[0:1]
	v_mul_f64 v[2:3], v[2:3], s[0:1]
	v_mov_b32_e32 v15, v23
	v_mov_b32_e32 v20, s15
	v_lshlrev_b64 v[12:13], 4, v[14:15]
	v_add_co_u32_e32 v4, vcc, s14, v6
	v_addc_co_u32_e32 v5, vcc, v20, v7, vcc
	v_add_co_u32_e32 v4, vcc, v4, v12
	v_addc_co_u32_e32 v5, vcc, v5, v13, vcc
	global_store_dwordx4 v[4:5], v[0:3], off
	global_load_dwordx4 v[0:3], v68, s[12:13] offset:1440
	s_mul_hi_u32 s5, s4, 0x5a0
	s_add_i32 s3, s5, s3
	v_add_co_u32_e32 v12, vcc, s2, v4
	v_mov_b32_e32 v20, s13
	s_movk_i32 s4, 0x1000
	s_waitcnt vmcnt(0)
	v_mul_f64 v[6:7], v[10:11], v[2:3]
	v_mul_f64 v[2:3], v[8:9], v[2:3]
	v_fma_f64 v[6:7], v[8:9], v[0:1], v[6:7]
	v_fma_f64 v[2:3], v[0:1], v[10:11], -v[2:3]
	v_mul_f64 v[0:1], v[6:7], s[0:1]
	v_mul_f64 v[2:3], v[2:3], s[0:1]
	v_mov_b32_e32 v6, s3
	v_addc_co_u32_e32 v13, vcc, v5, v6, vcc
	v_add_co_u32_e32 v22, vcc, s12, v68
	v_addc_co_u32_e32 v23, vcc, 0, v20, vcc
	global_store_dwordx4 v[12:13], v[0:3], off
	global_load_dwordx4 v[0:3], v68, s[12:13] offset:2880
	ds_read_b128 v[4:7], v68 offset:2880
	ds_read_b128 v[8:11], v68 offset:4320
	s_waitcnt vmcnt(0) lgkmcnt(1)
	v_mul_f64 v[14:15], v[6:7], v[2:3]
	v_mul_f64 v[2:3], v[4:5], v[2:3]
	v_fma_f64 v[4:5], v[4:5], v[0:1], v[14:15]
	v_fma_f64 v[2:3], v[0:1], v[6:7], -v[2:3]
	v_add_co_u32_e32 v14, vcc, s4, v22
	v_addc_co_u32_e32 v15, vcc, 0, v23, vcc
	v_mov_b32_e32 v6, s3
	s_movk_i32 s4, 0x2000
	v_mul_f64 v[0:1], v[4:5], s[0:1]
	v_mul_f64 v[2:3], v[2:3], s[0:1]
	v_add_co_u32_e32 v4, vcc, s2, v12
	v_addc_co_u32_e32 v5, vcc, v13, v6, vcc
	v_add_co_u32_e32 v12, vcc, s2, v4
	global_store_dwordx4 v[4:5], v[0:3], off
	global_load_dwordx4 v[0:3], v[14:15], off offset:224
	s_waitcnt vmcnt(0) lgkmcnt(0)
	v_mul_f64 v[6:7], v[10:11], v[2:3]
	v_mul_f64 v[2:3], v[8:9], v[2:3]
	v_fma_f64 v[6:7], v[8:9], v[0:1], v[6:7]
	v_fma_f64 v[2:3], v[0:1], v[10:11], -v[2:3]
	v_mul_f64 v[0:1], v[6:7], s[0:1]
	v_mul_f64 v[2:3], v[2:3], s[0:1]
	v_mov_b32_e32 v6, s3
	v_addc_co_u32_e32 v13, vcc, v5, v6, vcc
	global_store_dwordx4 v[12:13], v[0:3], off
	global_load_dwordx4 v[0:3], v[14:15], off offset:1664
	ds_read_b128 v[4:7], v68 offset:5760
	ds_read_b128 v[8:11], v68 offset:7200
	s_waitcnt vmcnt(0) lgkmcnt(1)
	v_mul_f64 v[20:21], v[6:7], v[2:3]
	v_mul_f64 v[2:3], v[4:5], v[2:3]
	v_fma_f64 v[4:5], v[4:5], v[0:1], v[20:21]
	v_fma_f64 v[2:3], v[0:1], v[6:7], -v[2:3]
	v_mul_f64 v[0:1], v[4:5], s[0:1]
	v_mul_f64 v[2:3], v[2:3], s[0:1]
	v_mov_b32_e32 v5, s3
	v_add_co_u32_e32 v4, vcc, s2, v12
	v_addc_co_u32_e32 v5, vcc, v13, v5, vcc
	v_add_co_u32_e32 v12, vcc, s4, v22
	global_store_dwordx4 v[4:5], v[0:3], off
	global_load_dwordx4 v[0:3], v[14:15], off offset:3104
	v_addc_co_u32_e32 v13, vcc, 0, v23, vcc
	v_add_co_u32_e32 v14, vcc, s2, v4
	s_movk_i32 s4, 0x3000
	s_waitcnt vmcnt(0) lgkmcnt(0)
	v_mul_f64 v[6:7], v[10:11], v[2:3]
	v_mul_f64 v[2:3], v[8:9], v[2:3]
	v_fma_f64 v[6:7], v[8:9], v[0:1], v[6:7]
	v_fma_f64 v[2:3], v[0:1], v[10:11], -v[2:3]
	v_mov_b32_e32 v8, s3
	v_addc_co_u32_e32 v15, vcc, v5, v8, vcc
	v_mul_f64 v[0:1], v[6:7], s[0:1]
	v_mul_f64 v[2:3], v[2:3], s[0:1]
	global_store_dwordx4 v[14:15], v[0:3], off
	global_load_dwordx4 v[0:3], v[12:13], off offset:448
	ds_read_b128 v[4:7], v68 offset:8640
	ds_read_b128 v[8:11], v68 offset:10080
	s_waitcnt vmcnt(0) lgkmcnt(1)
	v_mul_f64 v[20:21], v[6:7], v[2:3]
	v_mul_f64 v[2:3], v[4:5], v[2:3]
	v_fma_f64 v[4:5], v[4:5], v[0:1], v[20:21]
	v_fma_f64 v[2:3], v[0:1], v[6:7], -v[2:3]
	v_mul_f64 v[0:1], v[4:5], s[0:1]
	v_mul_f64 v[2:3], v[2:3], s[0:1]
	v_mov_b32_e32 v5, s3
	v_add_co_u32_e32 v4, vcc, s2, v14
	v_addc_co_u32_e32 v5, vcc, v15, v5, vcc
	v_add_co_u32_e32 v14, vcc, s2, v4
	global_store_dwordx4 v[4:5], v[0:3], off
	global_load_dwordx4 v[0:3], v[12:13], off offset:1888
	s_waitcnt vmcnt(0) lgkmcnt(0)
	v_mul_f64 v[6:7], v[10:11], v[2:3]
	v_mul_f64 v[2:3], v[8:9], v[2:3]
	v_fma_f64 v[6:7], v[8:9], v[0:1], v[6:7]
	v_fma_f64 v[2:3], v[0:1], v[10:11], -v[2:3]
	v_mul_f64 v[0:1], v[6:7], s[0:1]
	v_mul_f64 v[2:3], v[2:3], s[0:1]
	v_mov_b32_e32 v6, s3
	v_addc_co_u32_e32 v15, vcc, v5, v6, vcc
	global_store_dwordx4 v[14:15], v[0:3], off
	global_load_dwordx4 v[0:3], v[12:13], off offset:3328
	ds_read_b128 v[4:7], v68 offset:11520
	ds_read_b128 v[8:11], v68 offset:12960
	s_waitcnt vmcnt(0) lgkmcnt(1)
	v_mul_f64 v[12:13], v[6:7], v[2:3]
	v_mul_f64 v[2:3], v[4:5], v[2:3]
	v_fma_f64 v[4:5], v[4:5], v[0:1], v[12:13]
	v_fma_f64 v[2:3], v[0:1], v[6:7], -v[2:3]
	v_add_co_u32_e32 v12, vcc, s4, v22
	v_addc_co_u32_e32 v13, vcc, 0, v23, vcc
	v_mov_b32_e32 v6, s3
	s_movk_i32 s4, 0x4000
	v_mul_f64 v[0:1], v[4:5], s[0:1]
	v_mul_f64 v[2:3], v[2:3], s[0:1]
	v_add_co_u32_e32 v4, vcc, s2, v14
	v_addc_co_u32_e32 v5, vcc, v15, v6, vcc
	v_add_co_u32_e32 v14, vcc, s2, v4
	global_store_dwordx4 v[4:5], v[0:3], off
	global_load_dwordx4 v[0:3], v[12:13], off offset:672
	s_waitcnt vmcnt(0) lgkmcnt(0)
	v_mul_f64 v[6:7], v[10:11], v[2:3]
	v_mul_f64 v[2:3], v[8:9], v[2:3]
	v_fma_f64 v[6:7], v[8:9], v[0:1], v[6:7]
	v_fma_f64 v[2:3], v[0:1], v[10:11], -v[2:3]
	v_mul_f64 v[0:1], v[6:7], s[0:1]
	v_mul_f64 v[2:3], v[2:3], s[0:1]
	v_mov_b32_e32 v6, s3
	v_addc_co_u32_e32 v15, vcc, v5, v6, vcc
	global_store_dwordx4 v[14:15], v[0:3], off
	global_load_dwordx4 v[0:3], v[12:13], off offset:2112
	ds_read_b128 v[4:7], v68 offset:14400
	ds_read_b128 v[8:11], v68 offset:15840
	s_waitcnt vmcnt(0) lgkmcnt(1)
	v_mul_f64 v[20:21], v[6:7], v[2:3]
	v_mul_f64 v[2:3], v[4:5], v[2:3]
	v_fma_f64 v[4:5], v[4:5], v[0:1], v[20:21]
	v_fma_f64 v[2:3], v[0:1], v[6:7], -v[2:3]
	v_mul_f64 v[0:1], v[4:5], s[0:1]
	v_mul_f64 v[2:3], v[2:3], s[0:1]
	v_mov_b32_e32 v5, s3
	v_add_co_u32_e32 v4, vcc, s2, v14
	v_addc_co_u32_e32 v5, vcc, v15, v5, vcc
	global_store_dwordx4 v[4:5], v[0:3], off
	global_load_dwordx4 v[0:3], v[12:13], off offset:3552
	v_add_co_u32_e32 v12, vcc, s4, v22
	v_addc_co_u32_e32 v13, vcc, 0, v23, vcc
	v_add_co_u32_e32 v14, vcc, s2, v4
	s_movk_i32 s4, 0x5000
	s_waitcnt vmcnt(0) lgkmcnt(0)
	v_mul_f64 v[6:7], v[10:11], v[2:3]
	v_mul_f64 v[2:3], v[8:9], v[2:3]
	v_fma_f64 v[6:7], v[8:9], v[0:1], v[6:7]
	v_fma_f64 v[2:3], v[0:1], v[10:11], -v[2:3]
	v_mov_b32_e32 v8, s3
	v_addc_co_u32_e32 v15, vcc, v5, v8, vcc
	v_mul_f64 v[0:1], v[6:7], s[0:1]
	v_mul_f64 v[2:3], v[2:3], s[0:1]
	global_store_dwordx4 v[14:15], v[0:3], off
	global_load_dwordx4 v[0:3], v[12:13], off offset:896
	ds_read_b128 v[4:7], v68 offset:17280
	ds_read_b128 v[8:11], v68 offset:18720
	s_waitcnt vmcnt(0) lgkmcnt(1)
	v_mul_f64 v[20:21], v[6:7], v[2:3]
	v_mul_f64 v[2:3], v[4:5], v[2:3]
	v_fma_f64 v[4:5], v[4:5], v[0:1], v[20:21]
	v_fma_f64 v[2:3], v[0:1], v[6:7], -v[2:3]
	v_mul_f64 v[0:1], v[4:5], s[0:1]
	v_mul_f64 v[2:3], v[2:3], s[0:1]
	v_mov_b32_e32 v5, s3
	v_add_co_u32_e32 v4, vcc, s2, v14
	v_addc_co_u32_e32 v5, vcc, v15, v5, vcc
	v_add_co_u32_e32 v14, vcc, s2, v4
	global_store_dwordx4 v[4:5], v[0:3], off
	global_load_dwordx4 v[0:3], v[12:13], off offset:2336
	s_waitcnt vmcnt(0) lgkmcnt(0)
	v_mul_f64 v[6:7], v[10:11], v[2:3]
	v_mul_f64 v[2:3], v[8:9], v[2:3]
	v_fma_f64 v[6:7], v[8:9], v[0:1], v[6:7]
	v_fma_f64 v[2:3], v[0:1], v[10:11], -v[2:3]
	v_mul_f64 v[0:1], v[6:7], s[0:1]
	v_mul_f64 v[2:3], v[2:3], s[0:1]
	v_mov_b32_e32 v6, s3
	v_addc_co_u32_e32 v15, vcc, v5, v6, vcc
	global_store_dwordx4 v[14:15], v[0:3], off
	global_load_dwordx4 v[0:3], v[12:13], off offset:3776
	ds_read_b128 v[4:7], v68 offset:20160
	ds_read_b128 v[8:11], v68 offset:21600
	s_waitcnt vmcnt(0) lgkmcnt(1)
	v_mul_f64 v[12:13], v[6:7], v[2:3]
	v_mul_f64 v[2:3], v[4:5], v[2:3]
	v_fma_f64 v[4:5], v[4:5], v[0:1], v[12:13]
	v_fma_f64 v[2:3], v[0:1], v[6:7], -v[2:3]
	v_mov_b32_e32 v7, s3
	v_mul_f64 v[0:1], v[4:5], s[0:1]
	v_mul_f64 v[2:3], v[2:3], s[0:1]
	v_add_co_u32_e32 v4, vcc, s4, v22
	v_addc_co_u32_e32 v5, vcc, 0, v23, vcc
	v_add_co_u32_e32 v6, vcc, s2, v14
	v_addc_co_u32_e32 v7, vcc, v15, v7, vcc
	global_store_dwordx4 v[6:7], v[0:3], off
	global_load_dwordx4 v[0:3], v[4:5], off offset:1120
	v_add_co_u32_e32 v6, vcc, s2, v6
	s_waitcnt vmcnt(0) lgkmcnt(0)
	v_mul_f64 v[12:13], v[10:11], v[2:3]
	v_mul_f64 v[2:3], v[8:9], v[2:3]
	v_fma_f64 v[8:9], v[8:9], v[0:1], v[12:13]
	v_fma_f64 v[2:3], v[0:1], v[10:11], -v[2:3]
	v_mul_f64 v[0:1], v[8:9], s[0:1]
	v_mul_f64 v[2:3], v[2:3], s[0:1]
	v_mov_b32_e32 v8, s3
	v_addc_co_u32_e32 v7, vcc, v7, v8, vcc
	global_store_dwordx4 v[6:7], v[0:3], off
	global_load_dwordx4 v[0:3], v[4:5], off offset:2560
	s_waitcnt vmcnt(0)
	v_mul_f64 v[4:5], v[18:19], v[2:3]
	v_mul_f64 v[2:3], v[16:17], v[2:3]
	v_fma_f64 v[4:5], v[16:17], v[0:1], v[4:5]
	v_fma_f64 v[2:3], v[0:1], v[18:19], -v[2:3]
	v_mul_f64 v[0:1], v[4:5], s[0:1]
	v_mul_f64 v[2:3], v[2:3], s[0:1]
	v_mov_b32_e32 v5, s3
	v_add_co_u32_e32 v4, vcc, s2, v6
	v_addc_co_u32_e32 v5, vcc, v7, v5, vcc
	global_store_dwordx4 v[4:5], v[0:3], off
.LBB0_23:
	s_endpgm
	.section	.rodata,"a",@progbits
	.p2align	6, 0x0
	.amdhsa_kernel bluestein_single_back_len1530_dim1_dp_op_CI_CI
		.amdhsa_group_segment_fixed_size 24480
		.amdhsa_private_segment_fixed_size 744
		.amdhsa_kernarg_size 104
		.amdhsa_user_sgpr_count 6
		.amdhsa_user_sgpr_private_segment_buffer 1
		.amdhsa_user_sgpr_dispatch_ptr 0
		.amdhsa_user_sgpr_queue_ptr 0
		.amdhsa_user_sgpr_kernarg_segment_ptr 1
		.amdhsa_user_sgpr_dispatch_id 0
		.amdhsa_user_sgpr_flat_scratch_init 0
		.amdhsa_user_sgpr_private_segment_size 0
		.amdhsa_uses_dynamic_stack 0
		.amdhsa_system_sgpr_private_segment_wavefront_offset 1
		.amdhsa_system_sgpr_workgroup_id_x 1
		.amdhsa_system_sgpr_workgroup_id_y 0
		.amdhsa_system_sgpr_workgroup_id_z 0
		.amdhsa_system_sgpr_workgroup_info 0
		.amdhsa_system_vgpr_workitem_id 0
		.amdhsa_next_free_vgpr 256
		.amdhsa_next_free_sgpr 68
		.amdhsa_reserve_vcc 1
		.amdhsa_reserve_flat_scratch 0
		.amdhsa_float_round_mode_32 0
		.amdhsa_float_round_mode_16_64 0
		.amdhsa_float_denorm_mode_32 3
		.amdhsa_float_denorm_mode_16_64 3
		.amdhsa_dx10_clamp 1
		.amdhsa_ieee_mode 1
		.amdhsa_fp16_overflow 0
		.amdhsa_exception_fp_ieee_invalid_op 0
		.amdhsa_exception_fp_denorm_src 0
		.amdhsa_exception_fp_ieee_div_zero 0
		.amdhsa_exception_fp_ieee_overflow 0
		.amdhsa_exception_fp_ieee_underflow 0
		.amdhsa_exception_fp_ieee_inexact 0
		.amdhsa_exception_int_div_zero 0
	.end_amdhsa_kernel
	.text
.Lfunc_end0:
	.size	bluestein_single_back_len1530_dim1_dp_op_CI_CI, .Lfunc_end0-bluestein_single_back_len1530_dim1_dp_op_CI_CI
                                        ; -- End function
	.section	.AMDGPU.csdata,"",@progbits
; Kernel info:
; codeLenInByte = 32928
; NumSgprs: 72
; NumVgprs: 256
; ScratchSize: 744
; MemoryBound: 0
; FloatMode: 240
; IeeeMode: 1
; LDSByteSize: 24480 bytes/workgroup (compile time only)
; SGPRBlocks: 8
; VGPRBlocks: 63
; NumSGPRsForWavesPerEU: 72
; NumVGPRsForWavesPerEU: 256
; Occupancy: 1
; WaveLimiterHint : 1
; COMPUTE_PGM_RSRC2:SCRATCH_EN: 1
; COMPUTE_PGM_RSRC2:USER_SGPR: 6
; COMPUTE_PGM_RSRC2:TRAP_HANDLER: 0
; COMPUTE_PGM_RSRC2:TGID_X_EN: 1
; COMPUTE_PGM_RSRC2:TGID_Y_EN: 0
; COMPUTE_PGM_RSRC2:TGID_Z_EN: 0
; COMPUTE_PGM_RSRC2:TIDIG_COMP_CNT: 0
	.type	__hip_cuid_b1228731b727e4ca,@object ; @__hip_cuid_b1228731b727e4ca
	.section	.bss,"aw",@nobits
	.globl	__hip_cuid_b1228731b727e4ca
__hip_cuid_b1228731b727e4ca:
	.byte	0                               ; 0x0
	.size	__hip_cuid_b1228731b727e4ca, 1

	.ident	"AMD clang version 19.0.0git (https://github.com/RadeonOpenCompute/llvm-project roc-6.4.0 25133 c7fe45cf4b819c5991fe208aaa96edf142730f1d)"
	.section	".note.GNU-stack","",@progbits
	.addrsig
	.addrsig_sym __hip_cuid_b1228731b727e4ca
	.amdgpu_metadata
---
amdhsa.kernels:
  - .args:
      - .actual_access:  read_only
        .address_space:  global
        .offset:         0
        .size:           8
        .value_kind:     global_buffer
      - .actual_access:  read_only
        .address_space:  global
        .offset:         8
        .size:           8
        .value_kind:     global_buffer
      - .actual_access:  read_only
        .address_space:  global
        .offset:         16
        .size:           8
        .value_kind:     global_buffer
      - .actual_access:  read_only
        .address_space:  global
        .offset:         24
        .size:           8
        .value_kind:     global_buffer
      - .actual_access:  read_only
        .address_space:  global
        .offset:         32
        .size:           8
        .value_kind:     global_buffer
      - .offset:         40
        .size:           8
        .value_kind:     by_value
      - .address_space:  global
        .offset:         48
        .size:           8
        .value_kind:     global_buffer
      - .address_space:  global
        .offset:         56
        .size:           8
        .value_kind:     global_buffer
      - .address_space:  global
        .offset:         64
        .size:           8
        .value_kind:     global_buffer
      - .address_space:  global
        .offset:         72
        .size:           8
        .value_kind:     global_buffer
      - .offset:         80
        .size:           4
        .value_kind:     by_value
      - .address_space:  global
        .offset:         88
        .size:           8
        .value_kind:     global_buffer
      - .address_space:  global
        .offset:         96
        .size:           8
        .value_kind:     global_buffer
    .group_segment_fixed_size: 24480
    .kernarg_segment_align: 8
    .kernarg_segment_size: 104
    .language:       OpenCL C
    .language_version:
      - 2
      - 0
    .max_flat_workgroup_size: 102
    .name:           bluestein_single_back_len1530_dim1_dp_op_CI_CI
    .private_segment_fixed_size: 744
    .sgpr_count:     72
    .sgpr_spill_count: 0
    .symbol:         bluestein_single_back_len1530_dim1_dp_op_CI_CI.kd
    .uniform_work_group_size: 1
    .uses_dynamic_stack: false
    .vgpr_count:     256
    .vgpr_spill_count: 205
    .wavefront_size: 64
amdhsa.target:   amdgcn-amd-amdhsa--gfx906
amdhsa.version:
  - 1
  - 2
...

	.end_amdgpu_metadata
